;; amdgpu-corpus repo=ROCm/rocFFT kind=compiled arch=gfx1201 opt=O3
	.text
	.amdgcn_target "amdgcn-amd-amdhsa--gfx1201"
	.amdhsa_code_object_version 6
	.protected	fft_rtc_back_len432_factors_3_16_3_3_wgs_54_tpt_27_halfLds_sp_ip_CI_unitstride_sbrr_R2C_dirReg ; -- Begin function fft_rtc_back_len432_factors_3_16_3_3_wgs_54_tpt_27_halfLds_sp_ip_CI_unitstride_sbrr_R2C_dirReg
	.globl	fft_rtc_back_len432_factors_3_16_3_3_wgs_54_tpt_27_halfLds_sp_ip_CI_unitstride_sbrr_R2C_dirReg
	.p2align	8
	.type	fft_rtc_back_len432_factors_3_16_3_3_wgs_54_tpt_27_halfLds_sp_ip_CI_unitstride_sbrr_R2C_dirReg,@function
fft_rtc_back_len432_factors_3_16_3_3_wgs_54_tpt_27_halfLds_sp_ip_CI_unitstride_sbrr_R2C_dirReg: ; @fft_rtc_back_len432_factors_3_16_3_3_wgs_54_tpt_27_halfLds_sp_ip_CI_unitstride_sbrr_R2C_dirReg
; %bb.0:
	s_clause 0x2
	s_load_b128 s[4:7], s[0:1], 0x0
	s_load_b64 s[8:9], s[0:1], 0x50
	s_load_b64 s[10:11], s[0:1], 0x18
	v_mul_u32_u24_e32 v1, 0x97c, v0
	v_mov_b32_e32 v3, 0
	s_delay_alu instid0(VALU_DEP_2) | instskip(SKIP_2) | instid1(VALU_DEP_4)
	v_lshrrev_b32_e32 v9, 16, v1
	v_mov_b32_e32 v1, 0
	v_mov_b32_e32 v2, 0
	;; [unrolled: 1-line block ×3, first 2 shown]
	s_delay_alu instid0(VALU_DEP_4) | instskip(SKIP_2) | instid1(VALU_DEP_1)
	v_lshl_add_u32 v5, ttmp9, 1, v9
	s_wait_kmcnt 0x0
	v_cmp_lt_u64_e64 s2, s[6:7], 2
	s_and_b32 vcc_lo, exec_lo, s2
	s_cbranch_vccnz .LBB0_8
; %bb.1:
	s_load_b64 s[2:3], s[0:1], 0x10
	v_mov_b32_e32 v1, 0
	v_mov_b32_e32 v2, 0
	s_add_nc_u64 s[12:13], s[10:11], 8
	s_mov_b64 s[14:15], 1
	s_wait_kmcnt 0x0
	s_add_nc_u64 s[16:17], s[2:3], 8
	s_mov_b32 s3, 0
.LBB0_2:                                ; =>This Inner Loop Header: Depth=1
	s_load_b64 s[18:19], s[16:17], 0x0
                                        ; implicit-def: $vgpr7_vgpr8
	s_mov_b32 s2, exec_lo
	s_wait_kmcnt 0x0
	v_or_b32_e32 v4, s19, v6
	s_delay_alu instid0(VALU_DEP_1)
	v_cmpx_ne_u64_e32 0, v[3:4]
	s_wait_alu 0xfffe
	s_xor_b32 s20, exec_lo, s2
	s_cbranch_execz .LBB0_4
; %bb.3:                                ;   in Loop: Header=BB0_2 Depth=1
	s_cvt_f32_u32 s2, s18
	s_cvt_f32_u32 s21, s19
	s_sub_nc_u64 s[24:25], 0, s[18:19]
	s_wait_alu 0xfffe
	s_delay_alu instid0(SALU_CYCLE_1) | instskip(SKIP_1) | instid1(SALU_CYCLE_2)
	s_fmamk_f32 s2, s21, 0x4f800000, s2
	s_wait_alu 0xfffe
	v_s_rcp_f32 s2, s2
	s_delay_alu instid0(TRANS32_DEP_1) | instskip(SKIP_1) | instid1(SALU_CYCLE_2)
	s_mul_f32 s2, s2, 0x5f7ffffc
	s_wait_alu 0xfffe
	s_mul_f32 s21, s2, 0x2f800000
	s_wait_alu 0xfffe
	s_delay_alu instid0(SALU_CYCLE_2) | instskip(SKIP_1) | instid1(SALU_CYCLE_2)
	s_trunc_f32 s21, s21
	s_wait_alu 0xfffe
	s_fmamk_f32 s2, s21, 0xcf800000, s2
	s_cvt_u32_f32 s23, s21
	s_wait_alu 0xfffe
	s_delay_alu instid0(SALU_CYCLE_1) | instskip(SKIP_1) | instid1(SALU_CYCLE_2)
	s_cvt_u32_f32 s22, s2
	s_wait_alu 0xfffe
	s_mul_u64 s[26:27], s[24:25], s[22:23]
	s_wait_alu 0xfffe
	s_mul_hi_u32 s29, s22, s27
	s_mul_i32 s28, s22, s27
	s_mul_hi_u32 s2, s22, s26
	s_mul_i32 s30, s23, s26
	s_wait_alu 0xfffe
	s_add_nc_u64 s[28:29], s[2:3], s[28:29]
	s_mul_hi_u32 s21, s23, s26
	s_mul_hi_u32 s31, s23, s27
	s_add_co_u32 s2, s28, s30
	s_wait_alu 0xfffe
	s_add_co_ci_u32 s2, s29, s21
	s_mul_i32 s26, s23, s27
	s_add_co_ci_u32 s27, s31, 0
	s_wait_alu 0xfffe
	s_add_nc_u64 s[26:27], s[2:3], s[26:27]
	s_wait_alu 0xfffe
	v_add_co_u32 v4, s2, s22, s26
	s_delay_alu instid0(VALU_DEP_1) | instskip(SKIP_1) | instid1(VALU_DEP_1)
	s_cmp_lg_u32 s2, 0
	s_add_co_ci_u32 s23, s23, s27
	v_readfirstlane_b32 s22, v4
	s_wait_alu 0xfffe
	s_delay_alu instid0(VALU_DEP_1)
	s_mul_u64 s[24:25], s[24:25], s[22:23]
	s_wait_alu 0xfffe
	s_mul_hi_u32 s27, s22, s25
	s_mul_i32 s26, s22, s25
	s_mul_hi_u32 s2, s22, s24
	s_mul_i32 s28, s23, s24
	s_wait_alu 0xfffe
	s_add_nc_u64 s[26:27], s[2:3], s[26:27]
	s_mul_hi_u32 s21, s23, s24
	s_mul_hi_u32 s22, s23, s25
	s_wait_alu 0xfffe
	s_add_co_u32 s2, s26, s28
	s_add_co_ci_u32 s2, s27, s21
	s_mul_i32 s24, s23, s25
	s_add_co_ci_u32 s25, s22, 0
	s_wait_alu 0xfffe
	s_add_nc_u64 s[24:25], s[2:3], s[24:25]
	s_wait_alu 0xfffe
	v_add_co_u32 v4, s2, v4, s24
	s_delay_alu instid0(VALU_DEP_1) | instskip(SKIP_1) | instid1(VALU_DEP_1)
	s_cmp_lg_u32 s2, 0
	s_add_co_ci_u32 s2, s23, s25
	v_mul_hi_u32 v14, v5, v4
	s_wait_alu 0xfffe
	v_mad_co_u64_u32 v[7:8], null, v5, s2, 0
	v_mad_co_u64_u32 v[10:11], null, v6, v4, 0
	;; [unrolled: 1-line block ×3, first 2 shown]
	s_delay_alu instid0(VALU_DEP_3) | instskip(SKIP_1) | instid1(VALU_DEP_4)
	v_add_co_u32 v4, vcc_lo, v14, v7
	s_wait_alu 0xfffd
	v_add_co_ci_u32_e32 v7, vcc_lo, 0, v8, vcc_lo
	s_delay_alu instid0(VALU_DEP_2) | instskip(SKIP_1) | instid1(VALU_DEP_2)
	v_add_co_u32 v4, vcc_lo, v4, v10
	s_wait_alu 0xfffd
	v_add_co_ci_u32_e32 v4, vcc_lo, v7, v11, vcc_lo
	s_wait_alu 0xfffd
	v_add_co_ci_u32_e32 v7, vcc_lo, 0, v13, vcc_lo
	s_delay_alu instid0(VALU_DEP_2) | instskip(SKIP_1) | instid1(VALU_DEP_2)
	v_add_co_u32 v4, vcc_lo, v4, v12
	s_wait_alu 0xfffd
	v_add_co_ci_u32_e32 v10, vcc_lo, 0, v7, vcc_lo
	s_delay_alu instid0(VALU_DEP_2) | instskip(SKIP_1) | instid1(VALU_DEP_3)
	v_mul_lo_u32 v11, s19, v4
	v_mad_co_u64_u32 v[7:8], null, s18, v4, 0
	v_mul_lo_u32 v12, s18, v10
	s_delay_alu instid0(VALU_DEP_2) | instskip(NEXT) | instid1(VALU_DEP_2)
	v_sub_co_u32 v7, vcc_lo, v5, v7
	v_add3_u32 v8, v8, v12, v11
	s_delay_alu instid0(VALU_DEP_1) | instskip(SKIP_1) | instid1(VALU_DEP_1)
	v_sub_nc_u32_e32 v11, v6, v8
	s_wait_alu 0xfffd
	v_subrev_co_ci_u32_e64 v11, s2, s19, v11, vcc_lo
	v_add_co_u32 v12, s2, v4, 2
	s_wait_alu 0xf1ff
	v_add_co_ci_u32_e64 v13, s2, 0, v10, s2
	v_sub_co_u32 v14, s2, v7, s18
	v_sub_co_ci_u32_e32 v8, vcc_lo, v6, v8, vcc_lo
	s_wait_alu 0xf1ff
	v_subrev_co_ci_u32_e64 v11, s2, 0, v11, s2
	s_delay_alu instid0(VALU_DEP_3) | instskip(NEXT) | instid1(VALU_DEP_3)
	v_cmp_le_u32_e32 vcc_lo, s18, v14
	v_cmp_eq_u32_e64 s2, s19, v8
	s_wait_alu 0xfffd
	v_cndmask_b32_e64 v14, 0, -1, vcc_lo
	v_cmp_le_u32_e32 vcc_lo, s19, v11
	s_wait_alu 0xfffd
	v_cndmask_b32_e64 v15, 0, -1, vcc_lo
	v_cmp_le_u32_e32 vcc_lo, s18, v7
	;; [unrolled: 3-line block ×3, first 2 shown]
	s_wait_alu 0xfffd
	v_cndmask_b32_e64 v16, 0, -1, vcc_lo
	v_cmp_eq_u32_e32 vcc_lo, s19, v11
	s_wait_alu 0xf1ff
	s_delay_alu instid0(VALU_DEP_2)
	v_cndmask_b32_e64 v7, v16, v7, s2
	s_wait_alu 0xfffd
	v_cndmask_b32_e32 v11, v15, v14, vcc_lo
	v_add_co_u32 v14, vcc_lo, v4, 1
	s_wait_alu 0xfffd
	v_add_co_ci_u32_e32 v15, vcc_lo, 0, v10, vcc_lo
	s_delay_alu instid0(VALU_DEP_3) | instskip(SKIP_1) | instid1(VALU_DEP_2)
	v_cmp_ne_u32_e32 vcc_lo, 0, v11
	s_wait_alu 0xfffd
	v_dual_cndmask_b32 v8, v15, v13 :: v_dual_cndmask_b32 v11, v14, v12
	v_cmp_ne_u32_e32 vcc_lo, 0, v7
	s_wait_alu 0xfffd
	s_delay_alu instid0(VALU_DEP_2)
	v_dual_cndmask_b32 v8, v10, v8 :: v_dual_cndmask_b32 v7, v4, v11
.LBB0_4:                                ;   in Loop: Header=BB0_2 Depth=1
	s_wait_alu 0xfffe
	s_and_not1_saveexec_b32 s2, s20
	s_cbranch_execz .LBB0_6
; %bb.5:                                ;   in Loop: Header=BB0_2 Depth=1
	v_cvt_f32_u32_e32 v4, s18
	s_sub_co_i32 s20, 0, s18
	s_delay_alu instid0(VALU_DEP_1) | instskip(NEXT) | instid1(TRANS32_DEP_1)
	v_rcp_iflag_f32_e32 v4, v4
	v_mul_f32_e32 v4, 0x4f7ffffe, v4
	s_delay_alu instid0(VALU_DEP_1) | instskip(SKIP_1) | instid1(VALU_DEP_1)
	v_cvt_u32_f32_e32 v4, v4
	s_wait_alu 0xfffe
	v_mul_lo_u32 v7, s20, v4
	s_delay_alu instid0(VALU_DEP_1) | instskip(NEXT) | instid1(VALU_DEP_1)
	v_mul_hi_u32 v7, v4, v7
	v_add_nc_u32_e32 v4, v4, v7
	s_delay_alu instid0(VALU_DEP_1) | instskip(NEXT) | instid1(VALU_DEP_1)
	v_mul_hi_u32 v4, v5, v4
	v_mul_lo_u32 v7, v4, s18
	v_add_nc_u32_e32 v8, 1, v4
	s_delay_alu instid0(VALU_DEP_2) | instskip(NEXT) | instid1(VALU_DEP_1)
	v_sub_nc_u32_e32 v7, v5, v7
	v_subrev_nc_u32_e32 v10, s18, v7
	v_cmp_le_u32_e32 vcc_lo, s18, v7
	s_wait_alu 0xfffd
	s_delay_alu instid0(VALU_DEP_2) | instskip(NEXT) | instid1(VALU_DEP_1)
	v_dual_cndmask_b32 v7, v7, v10 :: v_dual_cndmask_b32 v4, v4, v8
	v_cmp_le_u32_e32 vcc_lo, s18, v7
	s_delay_alu instid0(VALU_DEP_2) | instskip(SKIP_1) | instid1(VALU_DEP_1)
	v_add_nc_u32_e32 v8, 1, v4
	s_wait_alu 0xfffd
	v_dual_cndmask_b32 v7, v4, v8 :: v_dual_mov_b32 v8, v3
.LBB0_6:                                ;   in Loop: Header=BB0_2 Depth=1
	s_wait_alu 0xfffe
	s_or_b32 exec_lo, exec_lo, s2
	s_load_b64 s[20:21], s[12:13], 0x0
	s_delay_alu instid0(VALU_DEP_1)
	v_mul_lo_u32 v4, v8, s18
	v_mul_lo_u32 v12, v7, s19
	v_mad_co_u64_u32 v[10:11], null, v7, s18, 0
	s_add_nc_u64 s[14:15], s[14:15], 1
	s_add_nc_u64 s[12:13], s[12:13], 8
	s_wait_alu 0xfffe
	v_cmp_ge_u64_e64 s2, s[14:15], s[6:7]
	s_add_nc_u64 s[16:17], s[16:17], 8
	s_delay_alu instid0(VALU_DEP_2) | instskip(NEXT) | instid1(VALU_DEP_3)
	v_add3_u32 v4, v11, v12, v4
	v_sub_co_u32 v5, vcc_lo, v5, v10
	s_wait_alu 0xfffd
	s_delay_alu instid0(VALU_DEP_2) | instskip(SKIP_3) | instid1(VALU_DEP_2)
	v_sub_co_ci_u32_e32 v4, vcc_lo, v6, v4, vcc_lo
	s_and_b32 vcc_lo, exec_lo, s2
	s_wait_kmcnt 0x0
	v_mul_lo_u32 v6, s21, v5
	v_mul_lo_u32 v4, s20, v4
	v_mad_co_u64_u32 v[1:2], null, s20, v5, v[1:2]
	s_delay_alu instid0(VALU_DEP_1)
	v_add3_u32 v2, v6, v2, v4
	s_wait_alu 0xfffe
	s_cbranch_vccnz .LBB0_9
; %bb.7:                                ;   in Loop: Header=BB0_2 Depth=1
	v_dual_mov_b32 v5, v7 :: v_dual_mov_b32 v6, v8
	s_branch .LBB0_2
.LBB0_8:
	v_dual_mov_b32 v8, v6 :: v_dual_mov_b32 v7, v5
.LBB0_9:
	s_lshl_b64 s[2:3], s[6:7], 3
	v_mul_hi_u32 v3, 0x97b425f, v0
	s_wait_alu 0xfffe
	s_add_nc_u64 s[2:3], s[10:11], s[2:3]
	s_load_b64 s[6:7], s[0:1], 0x20
	s_load_b64 s[2:3], s[2:3], 0x0
	v_and_b32_e32 v4, 1, v9
	s_delay_alu instid0(VALU_DEP_2) | instskip(NEXT) | instid1(VALU_DEP_2)
	v_mul_u32_u24_e32 v3, 27, v3
	v_cmp_eq_u32_e64 s0, 1, v4
	s_delay_alu instid0(VALU_DEP_2) | instskip(NEXT) | instid1(VALU_DEP_1)
	v_sub_nc_u32_e32 v26, v0, v3
	v_add_nc_u32_e32 v38, 27, v26
	v_add_nc_u32_e32 v36, 54, v26
	;; [unrolled: 1-line block ×4, first 2 shown]
	s_wait_kmcnt 0x0
	v_cmp_gt_u64_e32 vcc_lo, s[6:7], v[7:8]
	v_mul_lo_u32 v3, s2, v8
	v_mul_lo_u32 v5, s3, v7
	v_mad_co_u64_u32 v[0:1], null, s2, v7, v[1:2]
	v_cmp_le_u64_e64 s1, s[6:7], v[7:8]
	v_add_nc_u32_e32 v30, 0x87, v26
	s_delay_alu instid0(VALU_DEP_3) | instskip(NEXT) | instid1(VALU_DEP_3)
	v_add3_u32 v1, v5, v1, v3
	s_and_saveexec_b32 s2, s1
	s_wait_alu 0xfffe
	s_xor_b32 s1, exec_lo, s2
; %bb.10:
	v_add_nc_u32_e32 v38, 27, v26
	v_add_nc_u32_e32 v36, 54, v26
	;; [unrolled: 1-line block ×5, first 2 shown]
; %bb.11:
	s_wait_alu 0xfffe
	s_or_saveexec_b32 s1, s1
	v_cndmask_b32_e64 v2, 0, 0x1b1, s0
	v_lshlrev_b64_e32 v[28:29], 3, v[0:1]
	v_lshlrev_b32_e32 v31, 3, v26
	s_delay_alu instid0(VALU_DEP_3)
	v_lshlrev_b32_e32 v33, 3, v2
	s_wait_alu 0xfffe
	s_xor_b32 exec_lo, exec_lo, s1
	s_cbranch_execz .LBB0_13
; %bb.12:
	v_mov_b32_e32 v27, 0
	v_add_co_u32 v2, s0, s8, v28
	s_wait_alu 0xf1ff
	v_add_co_ci_u32_e64 v3, s0, s9, v29, s0
	s_delay_alu instid0(VALU_DEP_3) | instskip(SKIP_1) | instid1(VALU_DEP_1)
	v_lshlrev_b64_e32 v[0:1], 3, v[26:27]
	v_add3_u32 v27, 0, v33, v31
	v_add_nc_u32_e32 v35, 0x800, v27
	s_delay_alu instid0(VALU_DEP_3) | instskip(SKIP_1) | instid1(VALU_DEP_4)
	v_add_co_u32 v0, s0, v2, v0
	s_wait_alu 0xf1ff
	v_add_co_ci_u32_e64 v1, s0, v3, v1, s0
	s_clause 0xf
	global_load_b64 v[2:3], v[0:1], off
	global_load_b64 v[4:5], v[0:1], off offset:216
	global_load_b64 v[6:7], v[0:1], off offset:432
	;; [unrolled: 1-line block ×15, first 2 shown]
	s_wait_loadcnt 0xe
	ds_store_2addr_b64 v27, v[2:3], v[4:5] offset1:27
	s_wait_loadcnt 0xc
	ds_store_2addr_b64 v27, v[6:7], v[8:9] offset0:54 offset1:81
	s_wait_loadcnt 0xa
	ds_store_2addr_b64 v27, v[10:11], v[12:13] offset0:108 offset1:135
	;; [unrolled: 2-line block ×7, first 2 shown]
.LBB0_13:
	s_or_b32 exec_lo, exec_lo, s1
	v_add_nc_u32_e32 v0, 0, v31
	global_wb scope:SCOPE_SE
	s_wait_dscnt 0x0
	s_barrier_signal -1
	s_barrier_wait -1
	global_inv scope:SCOPE_SE
	v_add_nc_u32_e32 v27, v0, v33
	v_cmp_gt_u32_e64 s0, 9, v26
	ds_load_2addr_b64 v[0:3], v27 offset0:135 offset1:144
	v_add_nc_u32_e32 v54, 0, v33
	v_add_nc_u32_e32 v14, 0x800, v27
	s_delay_alu instid0(VALU_DEP_2)
	v_add_nc_u32_e32 v53, v54, v31
	ds_load_b64 v[23:24], v53
	ds_load_2addr_b64 v[10:13], v27 offset0:27 offset1:54
	ds_load_2addr_b64 v[15:18], v27 offset0:171 offset1:198
	;; [unrolled: 1-line block ×6, first 2 shown]
	ds_load_b64 v[8:9], v27 offset:3384
	s_wait_dscnt 0x7
	v_add_f32_e32 v25, v23, v2
	s_wait_dscnt 0x5
	v_dual_add_f32 v35, v24, v3 :: v_dual_add_f32 v56, v11, v16
	s_wait_dscnt 0x4
	v_sub_f32_e32 v57, v3, v7
	v_add_f32_e32 v3, v3, v7
	v_add_f32_e32 v51, v25, v6
	ds_load_2addr_b64 v[47:50], v14 offset0:113 offset1:140
	v_dual_add_f32 v25, v2, v6 :: v_dual_add_f32 v52, v35, v7
	v_add_f32_e32 v37, v10, v15
	v_sub_f32_e32 v2, v2, v6
	s_wait_dscnt 0x4
	v_dual_add_f32 v6, v15, v19 :: v_dual_sub_f32 v7, v16, v20
	v_add_f32_e32 v56, v56, v20
	v_add_f32_e32 v16, v16, v20
	v_fma_f32 v23, -0.5, v25, v23
	v_add_f32_e32 v20, v17, v21
	v_fmac_f32_e32 v24, -0.5, v3
	v_sub_f32_e32 v35, v15, v19
	v_fma_f32 v15, -0.5, v6, v10
	v_fmamk_f32 v10, v57, 0xbf5db3d7, v23
	v_fma_f32 v16, -0.5, v16, v11
	v_fmac_f32_e32 v23, 0x3f5db3d7, v57
	v_add_f32_e32 v55, v37, v19
	v_fmamk_f32 v11, v2, 0x3f5db3d7, v24
	v_fmac_f32_e32 v24, 0xbf5db3d7, v2
	v_add_f32_e32 v2, v12, v17
	v_fma_f32 v12, -0.5, v20, v12
	v_sub_f32_e32 v3, v18, v22
	v_dual_add_f32 v6, v13, v18 :: v_dual_fmamk_f32 v19, v7, 0xbf5db3d7, v15
	s_delay_alu instid0(VALU_DEP_4) | instskip(SKIP_2) | instid1(VALU_DEP_4)
	v_add_f32_e32 v57, v2, v21
	v_dual_add_f32 v2, v18, v22 :: v_dual_fmac_f32 v15, 0x3f5db3d7, v7
	v_fmamk_f32 v20, v35, 0x3f5db3d7, v16
	v_add_f32_e32 v58, v6, v22
	s_wait_dscnt 0x2
	s_delay_alu instid0(VALU_DEP_3)
	v_dual_add_f32 v6, v39, v43 :: v_dual_fmac_f32 v13, -0.5, v2
	v_dual_sub_f32 v2, v17, v21 :: v_dual_fmamk_f32 v59, v3, 0xbf5db3d7, v12
	v_fmac_f32_e32 v12, 0x3f5db3d7, v3
	s_wait_dscnt 0x0
	v_add_f32_e32 v3, v43, v47
	v_dual_add_f32 v21, v6, v47 :: v_dual_add_f32 v6, v40, v44
	v_fmamk_f32 v60, v2, 0x3f5db3d7, v13
	v_dual_fmac_f32 v13, 0xbf5db3d7, v2 :: v_dual_add_f32 v2, v44, v48
	s_delay_alu instid0(VALU_DEP_4)
	v_fma_f32 v17, -0.5, v3, v39
	v_sub_f32_e32 v3, v44, v48
	v_add_f32_e32 v22, v6, v48
	v_add_f32_e32 v6, v41, v45
	v_fma_f32 v18, -0.5, v2, v40
	v_sub_f32_e32 v2, v43, v47
	v_fmamk_f32 v61, v3, 0xbf5db3d7, v17
	v_fmac_f32_e32 v17, 0x3f5db3d7, v3
	v_add_f32_e32 v3, v45, v49
	v_add_f32_e32 v43, v6, v49
	v_dual_add_f32 v6, v46, v50 :: v_dual_add_f32 v7, v5, v9
	v_sub_f32_e32 v25, v5, v9
	s_delay_alu instid0(VALU_DEP_4)
	v_fma_f32 v41, -0.5, v3, v41
	v_sub_f32_e32 v3, v46, v50
	v_fmamk_f32 v62, v2, 0x3f5db3d7, v18
	v_fmac_f32_e32 v18, 0xbf5db3d7, v2
	v_add_f32_e32 v2, v42, v46
	global_wb scope:SCOPE_SE
	v_fmamk_f32 v47, v3, 0xbf5db3d7, v41
	v_fmac_f32_e32 v41, 0x3f5db3d7, v3
	v_dual_add_f32 v3, v4, v8 :: v_dual_add_f32 v44, v2, v50
	v_fmac_f32_e32 v42, -0.5, v6
	v_sub_f32_e32 v6, v45, v49
	s_barrier_signal -1
	s_delay_alu instid0(VALU_DEP_3)
	v_fma_f32 v2, -0.5, v3, v0
	v_fma_f32 v3, -0.5, v7, v1
	v_sub_f32_e32 v7, v4, v8
	s_barrier_wait -1
	global_inv scope:SCOPE_SE
	v_fmac_f32_e32 v16, 0xbf5db3d7, v35
	v_fmamk_f32 v40, v7, 0x3f5db3d7, v3
	v_fmac_f32_e32 v3, 0xbf5db3d7, v7
	v_mad_u32_u24 v7, v26, 24, v54
	ds_store_2addr_b64 v7, v[51:52], v[10:11] offset1:1
	ds_store_b64 v7, v[23:24] offset:16
	v_mad_i32_i24 v7, v34, 24, 0
	v_fmamk_f32 v48, v6, 0x3f5db3d7, v42
	v_fmac_f32_e32 v42, 0xbf5db3d7, v6
	v_mad_i32_i24 v6, v36, 24, 0
	v_mad_i32_i24 v10, v32, 24, 0
	v_fmamk_f32 v39, v25, 0xbf5db3d7, v2
	v_fmac_f32_e32 v2, 0x3f5db3d7, v25
	v_mad_i32_i24 v25, v38, 24, v54
	v_add_nc_u32_e32 v11, v6, v33
	ds_store_2addr_b64 v25, v[55:56], v[19:20] offset1:1
	ds_store_b64 v25, v[15:16] offset:16
	v_add_nc_u32_e32 v16, v10, v33
	v_add_nc_u32_e32 v15, v7, v33
	ds_store_2addr_b64 v11, v[57:58], v[59:60] offset1:1
	ds_store_b64 v11, v[12:13] offset:16
	ds_store_2addr_b64 v15, v[21:22], v[61:62] offset1:1
	ds_store_b64 v15, v[17:18] offset:16
	ds_store_2addr_b64 v16, v[43:44], v[47:48] offset1:1
	ds_store_b64 v16, v[41:42] offset:16
	s_and_saveexec_b32 s1, s0
	s_cbranch_execz .LBB0_15
; %bb.14:
	v_dual_add_f32 v1, v1, v5 :: v_dual_add_f32 v0, v0, v4
	v_mul_i32_i24_e32 v4, 24, v30
	s_delay_alu instid0(VALU_DEP_2) | instskip(NEXT) | instid1(VALU_DEP_2)
	v_dual_add_f32 v1, v1, v9 :: v_dual_add_f32 v0, v0, v8
	v_add3_u32 v4, 0, v4, v33
	ds_store_2addr_b64 v4, v[0:1], v[39:40] offset1:1
	ds_store_b64 v4, v[2:3] offset:16
.LBB0_15:
	s_wait_alu 0xfffe
	s_or_b32 exec_lo, exec_lo, s1
	v_and_b32_e32 v0, 0xff, v26
	global_wb scope:SCOPE_SE
	s_wait_dscnt 0x0
	s_barrier_signal -1
	s_barrier_wait -1
	global_inv scope:SCOPE_SE
	v_mul_lo_u16 v0, 0xab, v0
	s_delay_alu instid0(VALU_DEP_1) | instskip(NEXT) | instid1(VALU_DEP_1)
	v_lshrrev_b16 v8, 9, v0
	v_mul_lo_u16 v0, v8, 3
	s_delay_alu instid0(VALU_DEP_1) | instskip(NEXT) | instid1(VALU_DEP_1)
	v_sub_nc_u16 v0, v26, v0
	v_and_b32_e32 v25, 0xff, v0
	s_delay_alu instid0(VALU_DEP_1) | instskip(NEXT) | instid1(VALU_DEP_1)
	v_mul_u32_u24_e32 v0, 15, v25
	v_lshlrev_b32_e32 v0, 3, v0
	s_clause 0x7
	global_load_b128 v[15:18], v0, s[4:5]
	global_load_b128 v[19:22], v0, s[4:5] offset:16
	global_load_b128 v[41:44], v0, s[4:5] offset:32
	;; [unrolled: 1-line block ×6, first 2 shown]
	global_load_b64 v[0:1], v0, s[4:5] offset:112
	v_lshlrev_b32_e32 v4, 4, v36
	v_lshlrev_b32_e32 v5, 4, v34
	;; [unrolled: 1-line block ×3, first 2 shown]
	v_and_b32_e32 v8, 0xffff, v8
	s_delay_alu instid0(VALU_DEP_4) | instskip(NEXT) | instid1(VALU_DEP_4)
	v_sub_nc_u32_e32 v12, v6, v4
	v_sub_nc_u32_e32 v13, v7, v5
	s_delay_alu instid0(VALU_DEP_4)
	v_add3_u32 v55, 0, v9, v33
	ds_load_2addr_b64 v[4:7], v27 offset0:162 offset1:189
	v_lshlrev_b32_e32 v57, 3, v30
	v_add_nc_u32_e32 v37, v12, v33
	v_add_nc_u32_e32 v35, v13, v33
	ds_load_b64 v[12:13], v53
	ds_load_b64 v[23:24], v55
	v_mul_u32_u24_e32 v70, 48, v8
	ds_load_b64 v[78:79], v37
	ds_load_b64 v[80:81], v35
	v_lshlrev_b32_e32 v11, 4, v32
	s_wait_loadcnt_dscnt 0x702
	v_dual_mul_f32 v87, v16, v24 :: v_dual_add_nc_u32 v86, 0x400, v27
	v_mul_f32_e32 v16, v16, v23
	s_wait_dscnt 0x1
	v_mul_f32_e32 v88, v18, v79
	v_mul_f32_e32 v18, v18, v78
	v_sub_nc_u32_e32 v9, v10, v11
	s_wait_loadcnt_dscnt 0x600
	v_mul_f32_e32 v89, v20, v81
	v_fmac_f32_e32 v87, v15, v23
	s_wait_loadcnt 0x5
	v_mul_f32_e32 v23, v5, v44
	v_fma_f32 v15, v15, v24, -v16
	v_dual_fmac_f32 v89, v19, v80 :: v_dual_add_nc_u32 v56, v9, v33
	v_mul_f32_e32 v24, v4, v44
	v_add3_u32 v57, 0, v57, v33
	ds_load_b64 v[82:83], v56
	ds_load_2addr_b64 v[8:11], v27 offset0:216 offset1:243
	ds_load_2addr_b64 v[66:69], v14 offset0:14 offset1:41
	v_or_b32_e32 v25, v70, v25
	ds_load_b64 v[84:85], v57
	ds_load_2addr_b64 v[70:73], v14 offset0:68 offset1:95
	ds_load_2addr_b64 v[74:77], v14 offset0:122 offset1:149
	v_mul_f32_e32 v20, v20, v80
	v_dual_fmac_f32 v88, v17, v78 :: v_dual_lshlrev_b32 v25, 3, v25
	v_fma_f32 v17, v17, v79, -v18
	s_wait_loadcnt 0x4
	v_mul_f32_e32 v44, v6, v46
	v_fma_f32 v19, v19, v81, -v20
	global_wb scope:SCOPE_SE
	s_wait_loadcnt_dscnt 0x0
	s_barrier_signal -1
	s_barrier_wait -1
	global_inv scope:SCOPE_SE
	v_fmac_f32_e32 v23, v4, v43
	v_fma_f32 v4, v5, v43, -v24
	v_mul_f32_e32 v90, v83, v22
	v_mul_f32_e32 v16, v82, v22
	;; [unrolled: 1-line block ×4, first 2 shown]
	v_dual_mul_f32 v18, v84, v42 :: v_dual_mul_f32 v79, v71, v61
	v_mul_f32_e32 v42, v7, v46
	v_mul_f32_e32 v46, v9, v48
	v_dual_mul_f32 v48, v11, v50 :: v_dual_mul_f32 v5, v72, v63
	v_fma_f32 v16, v83, v21, -v16
	v_fmac_f32_e32 v22, v84, v41
	v_fma_f32 v18, v85, v41, -v18
	v_mul_f32_e32 v41, v70, v61
	v_dual_mul_f32 v61, v73, v63 :: v_dual_fmac_f32 v90, v82, v21
	v_dual_mul_f32 v21, v10, v50 :: v_dual_mul_f32 v50, v67, v52
	v_dual_mul_f32 v63, v77, v1 :: v_dual_mul_f32 v52, v66, v52
	v_mul_f32_e32 v1, v76, v1
	v_mul_f32_e32 v24, v75, v65
	;; [unrolled: 1-line block ×3, first 2 shown]
	s_delay_alu instid0(VALU_DEP_4)
	v_fmac_f32_e32 v63, v76, v0
	v_fmac_f32_e32 v46, v8, v47
	v_fma_f32 v8, v11, v49, -v21
	v_fma_f32 v11, v71, v60, -v41
	v_fmac_f32_e32 v48, v10, v49
	v_dual_mul_f32 v78, v69, v59 :: v_dual_fmac_f32 v79, v70, v60
	v_dual_mul_f32 v59, v68, v59 :: v_dual_fmac_f32 v42, v6, v45
	v_fma_f32 v6, v7, v45, -v44
	v_fma_f32 v7, v9, v47, -v20
	;; [unrolled: 1-line block ×4, first 2 shown]
	v_sub_f32_e32 v11, v16, v11
	v_dual_fmac_f32 v50, v66, v51 :: v_dual_sub_f32 v43, v87, v48
	v_fmac_f32_e32 v24, v74, v64
	v_fma_f32 v10, v69, v58, -v59
	v_fmac_f32_e32 v61, v72, v62
	s_delay_alu instid0(VALU_DEP_4)
	v_sub_f32_e32 v41, v88, v50
	v_dual_fmac_f32 v78, v68, v58 :: v_dual_sub_f32 v21, v90, v79
	v_fma_f32 v5, v73, v62, -v5
	v_fma_f32 v0, v77, v0, -v1
	v_sub_f32_e32 v7, v13, v7
	v_sub_f32_e32 v9, v17, v9
	v_dual_sub_f32 v1, v12, v46 :: v_dual_sub_f32 v24, v23, v24
	v_dual_sub_f32 v5, v18, v5 :: v_dual_sub_f32 v20, v4, v20
	;; [unrolled: 1-line block ×3, first 2 shown]
	v_sub_f32_e32 v46, v42, v63
	s_delay_alu instid0(VALU_DEP_4)
	v_fma_f32 v12, v12, 2.0, -v1
	v_fma_f32 v47, v90, 2.0, -v21
	v_sub_f32_e32 v21, v7, v21
	v_sub_f32_e32 v44, v22, v61
	v_fma_f32 v16, v16, 2.0, -v11
	v_fma_f32 v48, v88, 2.0, -v41
	v_sub_f32_e32 v47, v12, v47
	v_fma_f32 v23, v23, 2.0, -v24
	v_dual_sub_f32 v10, v19, v10 :: v_dual_add_f32 v11, v1, v11
	v_fma_f32 v13, v13, 2.0, -v7
	v_fma_f32 v4, v4, 2.0, -v20
	;; [unrolled: 1-line block ×5, first 2 shown]
	v_dual_sub_f32 v1, v48, v23 :: v_dual_sub_f32 v46, v10, v46
	v_fma_f32 v7, v7, 2.0, -v21
	v_sub_f32_e32 v44, v8, v44
	v_add_f32_e32 v20, v41, v20
	v_sub_f32_e32 v0, v6, v0
	v_fma_f32 v49, v87, 2.0, -v43
	v_fma_f32 v18, v18, 2.0, -v5
	v_add_f32_e32 v5, v43, v5
	v_fmamk_f32 v59, v46, 0x3f3504f3, v44
	v_fma_f32 v23, v41, 2.0, -v20
	v_sub_f32_e32 v16, v13, v16
	v_fma_f32 v6, v6, 2.0, -v0
	v_sub_f32_e32 v24, v9, v24
	v_add_f32_e32 v0, v45, v0
	v_fma_f32 v17, v17, 2.0, -v9
	v_dual_sub_f32 v63, v16, v1 :: v_dual_sub_f32 v22, v49, v22
	v_fma_f32 v50, v89, 2.0, -v45
	s_delay_alu instid0(VALU_DEP_4)
	v_fmac_f32_e32 v59, 0xbf3504f3, v0
	v_fma_f32 v41, v43, 2.0, -v5
	v_fma_f32 v43, v45, 2.0, -v0
	v_fmamk_f32 v45, v20, 0x3f3504f3, v11
	v_fma_f32 v9, v9, 2.0, -v24
	v_fma_f32 v49, v49, 2.0, -v22
	v_fmamk_f32 v52, v24, 0x3f3504f3, v21
	;; [unrolled: 3-line block ×3, first 2 shown]
	v_fmamk_f32 v61, v9, 0xbf3504f3, v7
	v_fmac_f32_e32 v45, 0x3f3504f3, v24
	v_fma_f32 v10, v10, 2.0, -v46
	v_fmac_f32_e32 v52, 0xbf3504f3, v20
	v_sub_f32_e32 v42, v50, v42
	v_fmamk_f32 v24, v43, 0xbf3504f3, v41
	v_fmac_f32_e32 v60, 0x3f3504f3, v9
	v_fmac_f32_e32 v61, 0xbf3504f3, v23
	v_fma_f32 v65, v16, 2.0, -v63
	v_sub_f32_e32 v18, v15, v18
	v_fma_f32 v50, v50, 2.0, -v42
	v_fmac_f32_e32 v24, 0x3f3504f3, v10
	v_fma_f32 v66, v11, 2.0, -v45
	v_fmamk_f32 v58, v0, 0x3f3504f3, v5
	v_fma_f32 v12, v12, 2.0, -v47
	v_sub_f32_e32 v11, v49, v50
	v_fma_f32 v50, v51, 2.0, -v60
	v_fma_f32 v41, v41, 2.0, -v24
	v_sub_f32_e32 v42, v18, v42
	v_sub_f32_e32 v4, v17, v4
	v_fma_f32 v13, v13, 2.0, -v16
	v_fma_f32 v48, v48, 2.0, -v1
	;; [unrolled: 1-line block ×3, first 2 shown]
	v_fmamk_f32 v1, v42, 0x3f3504f3, v63
	v_fma_f32 v17, v17, 2.0, -v4
	v_fmac_f32_e32 v58, 0x3f3504f3, v46
	v_sub_f32_e32 v46, v12, v48
	v_fma_f32 v67, v21, 2.0, -v52
	v_fma_f32 v21, v18, 2.0, -v42
	v_sub_f32_e32 v48, v13, v17
	v_sub_f32_e32 v6, v19, v6
	v_fma_f32 v23, v44, 2.0, -v59
	v_fma_f32 v51, v7, 2.0, -v61
	;; [unrolled: 1-line block ×3, first 2 shown]
	v_sub_f32_e32 v11, v48, v11
	v_fma_f32 v19, v19, 2.0, -v6
	v_dual_add_f32 v20, v22, v6 :: v_dual_fmamk_f32 v9, v23, 0xbec3ef15, v67
	v_dual_fmamk_f32 v64, v10, 0xbf3504f3, v8 :: v_dual_fmamk_f32 v7, v21, 0xbf3504f3, v65
	v_fma_f32 v15, v15, 2.0, -v18
	s_delay_alu instid0(VALU_DEP_3) | instskip(SKIP_1) | instid1(VALU_DEP_4)
	v_fmac_f32_e32 v1, 0xbf3504f3, v20
	v_add3_u32 v25, 0, v25, v33
	v_fmac_f32_e32 v64, 0xbf3504f3, v43
	v_add_f32_e32 v62, v47, v4
	v_sub_f32_e32 v16, v15, v19
	v_fma_f32 v19, v22, 2.0, -v20
	v_fma_f32 v22, v5, 2.0, -v58
	v_fmamk_f32 v4, v58, 0x3f6c835e, v45
	v_fma_f32 v49, v8, 2.0, -v64
	s_delay_alu instid0(VALU_DEP_4)
	v_fmac_f32_e32 v7, 0xbf3504f3, v19
	v_fmamk_f32 v5, v59, 0x3f6c835e, v52
	v_fmac_f32_e32 v9, 0xbf6c835e, v22
	v_fma_f32 v44, v13, 2.0, -v48
	v_fmamk_f32 v13, v64, 0x3ec3ef15, v61
	v_fma_f32 v47, v47, 2.0, -v62
	v_fmamk_f32 v0, v20, 0x3f3504f3, v62
	v_fmac_f32_e32 v5, 0xbec3ef15, v58
	v_fma_f32 v43, v12, 2.0, -v46
	v_fmac_f32_e32 v13, 0xbf6c835e, v24
	v_fma_f32 v18, v15, 2.0, -v16
	v_fmamk_f32 v6, v19, 0xbf3504f3, v47
	v_fmamk_f32 v8, v22, 0xbec3ef15, v66
	;; [unrolled: 1-line block ×3, first 2 shown]
	v_dual_fmac_f32 v4, 0x3ec3ef15, v59 :: v_dual_sub_f32 v15, v43, v17
	v_dual_fmamk_f32 v17, v41, 0xbf6c835e, v50 :: v_dual_add_f32 v10, v46, v16
	v_fmac_f32_e32 v0, 0x3f3504f3, v42
	v_sub_f32_e32 v16, v44, v18
	v_fmamk_f32 v18, v49, 0xbf6c835e, v51
	s_delay_alu instid0(VALU_DEP_4)
	v_fmac_f32_e32 v17, 0x3ec3ef15, v49
	v_fmac_f32_e32 v6, 0x3f3504f3, v21
	;; [unrolled: 1-line block ×4, first 2 shown]
	v_fma_f32 v21, v62, 2.0, -v0
	v_fma_f32 v22, v63, 2.0, -v1
	;; [unrolled: 1-line block ×4, first 2 shown]
	v_fmac_f32_e32 v18, 0xbec3ef15, v41
	ds_store_2addr_b64 v25, v[0:1], v[4:5] offset0:42 offset1:45
	v_fma_f32 v0, v43, 2.0, -v15
	v_fma_f32 v1, v44, 2.0, -v16
	;; [unrolled: 1-line block ×10, first 2 shown]
	ds_store_2addr_b64 v25, v[21:22], v[23:24] offset0:18 offset1:21
	ds_store_2addr_b64 v25, v[6:7], v[8:9] offset0:30 offset1:33
	v_fma_f32 v6, v50, 2.0, -v17
	v_fma_f32 v7, v51, 2.0, -v18
	ds_store_2addr_b64 v25, v[10:11], v[12:13] offset0:36 offset1:39
	ds_store_2addr_b64 v25, v[41:42], v[43:44] offset0:6 offset1:9
	ds_store_2addr_b64 v25, v[19:20], v[45:46] offset0:12 offset1:15
	ds_store_2addr_b64 v25, v[15:16], v[17:18] offset0:24 offset1:27
	ds_store_2addr_b64 v25, v[0:1], v[6:7] offset1:3
	global_wb scope:SCOPE_SE
	s_wait_dscnt 0x0
	s_barrier_signal -1
	s_barrier_wait -1
	global_inv scope:SCOPE_SE
	ds_load_2addr_b64 v[18:21], v27 offset0:144 offset1:171
	ds_load_2addr_b64 v[6:9], v86 offset0:124 offset1:160
	;; [unrolled: 1-line block ×4, first 2 shown]
	ds_load_b64 v[51:52], v53
	ds_load_b64 v[49:50], v55
	;; [unrolled: 1-line block ×4, first 2 shown]
	ds_load_2addr_b64 v[14:17], v14 offset0:113 offset1:140
	ds_load_b64 v[43:44], v56
	s_and_saveexec_b32 s1, s0
	s_cbranch_execz .LBB0_17
; %bb.16:
	v_add_nc_u32_e32 v0, 0x800, v27
	ds_load_2addr_b64 v[0:3], v0 offset0:23 offset1:167
	ds_load_b64 v[4:5], v57
	s_wait_dscnt 0x1
	v_dual_mov_b32 v40, v1 :: v_dual_mov_b32 v39, v0
.LBB0_17:
	s_wait_alu 0xfffe
	s_or_b32 exec_lo, exec_lo, s1
	v_dual_mov_b32 v1, 0 :: v_dual_lshlrev_b32 v0, 1, v26
	v_subrev_nc_u32_e32 v41, 21, v26
	v_cmp_gt_u32_e64 s1, 21, v26
	s_delay_alu instid0(VALU_DEP_3) | instskip(SKIP_1) | instid1(VALU_DEP_2)
	v_mov_b32_e32 v59, v1
	s_wait_alu 0xf1ff
	v_cndmask_b32_e64 v83, v41, v38, s1
	v_lshlrev_b64_e32 v[41:42], 3, v[0:1]
	v_add_nc_u32_e32 v0, 12, v0
	s_delay_alu instid0(VALU_DEP_3) | instskip(NEXT) | instid1(VALU_DEP_3)
	v_lshlrev_b32_e32 v58, 1, v83
	v_add_co_u32 v41, s1, s4, v41
	s_wait_alu 0xf1ff
	s_delay_alu instid0(VALU_DEP_4)
	v_add_co_ci_u32_e64 v42, s1, s5, v42, s1
	v_lshlrev_b64_e32 v[0:1], 3, v[0:1]
	v_lshlrev_b64_e32 v[63:64], 3, v[58:59]
	global_load_b128 v[59:62], v[41:42], off offset:360
	v_and_b32_e32 v69, 0xff, v34
	v_add_co_u32 v0, s1, s4, v0
	s_wait_alu 0xf1ff
	v_add_co_ci_u32_e64 v1, s1, s5, v1, s1
	v_add_co_u32 v67, s1, s4, v63
	s_wait_alu 0xf1ff
	v_add_co_ci_u32_e64 v68, s1, s5, v64, s1
	global_load_b128 v[63:66], v[0:1], off offset:360
	v_mul_lo_u16 v1, 0xab, v69
	v_and_b32_e32 v0, 0xff, v32
	global_load_b128 v[67:70], v[67:68], off offset:360
	v_cmp_lt_u32_e64 s1, 20, v26
	v_and_b32_e32 v58, 0xff, v30
	v_lshrrev_b16 v1, 13, v1
	v_mul_lo_u16 v0, 0xab, v0
	v_lshlrev_b32_e32 v83, 3, v83
	s_wait_alu 0xf1ff
	v_cndmask_b32_e64 v85, 0, 0x480, s1
	v_mul_lo_u16 v71, v1, 48
	v_lshrrev_b16 v0, 13, v0
	v_and_b32_e32 v1, 0xffff, v1
	s_delay_alu instid0(VALU_DEP_3) | instskip(NEXT) | instid1(VALU_DEP_3)
	v_sub_nc_u16 v71, v34, v71
	v_mul_lo_u16 v0, v0, 48
	s_delay_alu instid0(VALU_DEP_3) | instskip(NEXT) | instid1(VALU_DEP_3)
	v_mad_u32_u24 v1, 0x480, v1, 0
	v_and_b32_e32 v84, 0xff, v71
	s_delay_alu instid0(VALU_DEP_3) | instskip(NEXT) | instid1(VALU_DEP_2)
	v_sub_nc_u16 v0, v32, v0
	v_lshlrev_b32_e32 v71, 4, v84
	v_lshlrev_b32_e32 v84, 3, v84
	global_load_b128 v[71:74], v71, s[4:5] offset:360
	v_and_b32_e32 v0, 0xff, v0
	v_add3_u32 v84, v1, v84, v33
	v_add_nc_u32_e32 v85, 0, v85
	s_delay_alu instid0(VALU_DEP_3) | instskip(NEXT) | instid1(VALU_DEP_2)
	v_lshlrev_b32_e32 v75, 4, v0
	v_add3_u32 v83, v85, v83, v33
	s_wait_loadcnt_dscnt 0x309
	v_mul_f32_e32 v1, v60, v18
	s_delay_alu instid0(VALU_DEP_1) | instskip(SKIP_1) | instid1(VALU_DEP_1)
	v_fma_f32 v1, v59, v19, -v1
	v_lshlrev_b32_e32 v0, 3, v0
	v_add3_u32 v85, 0, v0, v33
	s_wait_loadcnt_dscnt 0x207
	v_dual_mul_f32 v0, v60, v19 :: v_dual_mul_f32 v19, v66, v25
	v_mul_lo_u16 v58, 0xab, v58
	v_mul_f32_e32 v60, v62, v9
	v_mul_f32_e32 v62, v62, v8
	s_delay_alu instid0(VALU_DEP_4) | instskip(NEXT) | instid1(VALU_DEP_4)
	v_dual_fmac_f32 v0, v59, v18 :: v_dual_fmac_f32 v19, v65, v24
	v_lshrrev_b16 v58, 13, v58
	s_delay_alu instid0(VALU_DEP_4)
	v_fmac_f32_e32 v60, v61, v8
	s_wait_dscnt 0x6
	v_dual_mul_f32 v18, v64, v10 :: v_dual_mul_f32 v59, v66, v24
	s_wait_loadcnt 0x1
	v_mul_f32_e32 v66, v70, v22
	v_mul_lo_u16 v58, v58, 48
	v_fma_f32 v8, v61, v9, -v62
	v_mul_f32_e32 v9, v64, v11
	v_dual_mul_f32 v61, v68, v21 :: v_dual_mul_f32 v64, v70, v23
	s_delay_alu instid0(VALU_DEP_4) | instskip(SKIP_1) | instid1(VALU_DEP_4)
	v_sub_nc_u16 v58, v30, v58
	v_mul_f32_e32 v62, v68, v20
	v_dual_fmac_f32 v9, v63, v10 :: v_dual_add_nc_u32 v86, 0x800, v85
	v_fma_f32 v10, v63, v11, -v18
	s_delay_alu instid0(VALU_DEP_4)
	v_and_b32_e32 v58, 0xff, v58
	v_fma_f32 v11, v65, v25, -v59
	s_wait_dscnt 0x5
	v_add_f32_e32 v18, v51, v0
	v_add_f32_e32 v24, v0, v60
	v_add_f32_e32 v59, v52, v1
	v_lshlrev_b32_e32 v79, 4, v58
	s_clause 0x1
	global_load_b128 v[75:78], v75, s[4:5] offset:360
	global_load_b128 v[79:82], v79, s[4:5] offset:360
	v_add_f32_e32 v63, v1, v8
	v_dual_fmac_f32 v61, v67, v20 :: v_dual_fmac_f32 v64, v69, v22
	v_add_f32_e32 v22, v9, v19
	v_sub_f32_e32 v25, v1, v8
	v_sub_f32_e32 v65, v0, v60
	v_fma_f32 v20, v67, v21, -v62
	s_wait_loadcnt_dscnt 0x201
	v_mul_f32_e32 v67, v14, v74
	v_fma_f32 v21, v69, v23, -v66
	v_dual_add_f32 v1, v59, v8 :: v_dual_fmac_f32 v52, -0.5, v63
	v_sub_f32_e32 v23, v10, v11
	v_add_f32_e32 v59, v10, v11
	v_fma_f32 v51, -0.5, v24, v51
	v_add_f32_e32 v0, v18, v60
	v_dual_add_f32 v18, v47, v9 :: v_dual_mul_f32 v63, v72, v12
	v_add_f32_e32 v24, v48, v10
	v_mul_f32_e32 v66, v15, v74
	v_fma_f32 v47, -0.5, v22, v47
	v_mul_f32_e32 v62, v72, v13
	v_sub_f32_e32 v60, v9, v19
	v_fmamk_f32 v9, v65, 0x3f5db3d7, v52
	global_wb scope:SCOPE_SE
	s_wait_loadcnt_dscnt 0x0
	s_barrier_signal -1
	s_barrier_wait -1
	global_inv scope:SCOPE_SE
	v_mul_f32_e32 v69, v6, v76
	v_dual_mul_f32 v68, v7, v76 :: v_dual_add_f32 v11, v24, v11
	v_mul_f32_e32 v74, v40, v80
	v_mul_f32_e32 v70, v17, v78
	s_delay_alu instid0(VALU_DEP_3)
	v_fmac_f32_e32 v68, v6, v75
	v_fmamk_f32 v6, v23, 0xbf5db3d7, v47
	v_fmac_f32_e32 v47, 0x3f5db3d7, v23
	v_fmac_f32_e32 v74, v39, v79
	v_add_f32_e32 v22, v50, v20
	v_fmac_f32_e32 v48, -0.5, v59
	v_dual_fmac_f32 v52, 0xbf5db3d7, v65 :: v_dual_add_f32 v23, v43, v68
	s_delay_alu instid0(VALU_DEP_4)
	v_add_f32_e32 v59, v4, v74
	v_dual_mul_f32 v72, v16, v78 :: v_dual_add_f32 v65, v49, v61
	v_dual_add_f32 v10, v18, v19 :: v_dual_sub_f32 v19, v20, v21
	v_fmac_f32_e32 v62, v71, v12
	v_fma_f32 v12, v71, v13, -v63
	v_fma_f32 v13, v15, v73, -v67
	v_mul_f32_e32 v78, v3, v82
	v_fma_f32 v15, v17, v77, -v72
	v_fmac_f32_e32 v66, v14, v73
	v_fmamk_f32 v8, v25, 0xbf5db3d7, v51
	v_fmac_f32_e32 v51, 0x3f5db3d7, v25
	v_mul_f32_e32 v25, v2, v82
	v_fma_f32 v14, v7, v75, -v69
	v_add_f32_e32 v20, v20, v21
	v_add_f32_e32 v18, v61, v64
	v_fmac_f32_e32 v70, v16, v77
	v_fma_f32 v17, v3, v81, -v25
	v_add_f32_e32 v3, v22, v21
	v_add_f32_e32 v21, v12, v13
	v_fmac_f32_e32 v78, v2, v81
	ds_store_2addr_b64 v27, v[0:1], v[8:9] offset1:48
	ds_store_b64 v27, v[51:52] offset:768
	v_add_f32_e32 v51, v14, v15
	v_dual_sub_f32 v63, v74, v78 :: v_dual_mul_f32 v76, v39, v80
	v_fmamk_f32 v7, v60, 0x3f5db3d7, v48
	v_sub_f32_e32 v39, v14, v15
	v_fma_f32 v49, -0.5, v18, v49
	v_fmac_f32_e32 v50, -0.5, v20
	v_fma_f32 v16, v40, v79, -v76
	v_add_f32_e32 v40, v44, v14
	v_sub_f32_e32 v24, v61, v64
	v_fmamk_f32 v8, v19, 0xbf5db3d7, v49
	v_fmac_f32_e32 v49, 0x3f5db3d7, v19
	v_sub_f32_e32 v61, v16, v17
	v_add_f32_e32 v15, v40, v15
	v_add_f32_e32 v1, v62, v66
	v_sub_f32_e32 v22, v62, v66
	v_fmac_f32_e32 v44, -0.5, v51
	v_add_f32_e32 v20, v46, v12
	v_fmac_f32_e32 v46, -0.5, v21
	v_add_f32_e32 v0, v45, v62
	v_add_f32_e32 v62, v5, v16
	;; [unrolled: 1-line block ×3, first 2 shown]
	v_dual_add_f32 v2, v65, v64 :: v_dual_fmamk_f32 v9, v24, 0x3f5db3d7, v50
	v_fma_f32 v45, -0.5, v1, v45
	v_fmac_f32_e32 v50, 0xbf5db3d7, v24
	s_delay_alu instid0(VALU_DEP_4)
	v_dual_fmac_f32 v5, -0.5, v16 :: v_dual_sub_f32 v18, v12, v13
	v_dual_fmac_f32 v48, 0xbf5db3d7, v60 :: v_dual_add_f32 v13, v20, v13
	v_add_f32_e32 v25, v68, v70
	v_add_f32_e32 v1, v62, v17
	ds_store_2addr_b64 v83, v[2:3], v[8:9] offset1:48
	ds_store_b64 v83, v[49:50] offset:768
	ds_store_2addr_b64 v27, v[10:11], v[6:7] offset0:150 offset1:198
	ds_store_b64 v27, v[47:48] offset:1968
	v_fmamk_f32 v3, v63, 0x3f5db3d7, v5
	v_fmac_f32_e32 v5, 0xbf5db3d7, v63
	v_fmamk_f32 v6, v18, 0xbf5db3d7, v45
	v_fmac_f32_e32 v45, 0x3f5db3d7, v18
	v_add_f32_e32 v60, v74, v78
	v_sub_f32_e32 v52, v68, v70
	v_fma_f32 v43, -0.5, v25, v43
	v_dual_fmamk_f32 v7, v22, 0x3f5db3d7, v46 :: v_dual_add_f32 v12, v0, v66
	s_delay_alu instid0(VALU_DEP_4)
	v_fmac_f32_e32 v4, -0.5, v60
	v_add_f32_e32 v0, v59, v78
	v_fmac_f32_e32 v46, 0xbf5db3d7, v22
	v_add_f32_e32 v14, v23, v70
	v_fmamk_f32 v8, v39, 0xbf5db3d7, v43
	v_fmamk_f32 v2, v61, 0xbf5db3d7, v4
	v_fmac_f32_e32 v4, 0x3f5db3d7, v61
	v_fmamk_f32 v9, v52, 0x3f5db3d7, v44
	v_fmac_f32_e32 v43, 0x3f5db3d7, v39
	v_fmac_f32_e32 v44, 0xbf5db3d7, v52
	ds_store_2addr_b64 v84, v[12:13], v[6:7] offset1:48
	ds_store_b64 v84, v[45:46] offset:768
	ds_store_2addr_b64 v86, v[14:15], v[8:9] offset0:32 offset1:80
	ds_store_b64 v85, v[43:44] offset:3072
	s_and_saveexec_b32 s1, s0
	s_cbranch_execz .LBB0_19
; %bb.18:
	v_lshlrev_b32_e32 v6, 3, v58
	s_delay_alu instid0(VALU_DEP_1) | instskip(NEXT) | instid1(VALU_DEP_1)
	v_add3_u32 v6, 0, v6, v33
	v_add_nc_u32_e32 v7, 0x800, v6
	ds_store_2addr_b64 v7, v[0:1], v[2:3] offset0:32 offset1:80
	ds_store_b64 v6, v[4:5] offset:3072
.LBB0_19:
	s_wait_alu 0xfffe
	s_or_b32 exec_lo, exec_lo, s1
	v_add_nc_u32_e32 v6, 0x400, v27
	v_add_nc_u32_e32 v10, 0x800, v27
	global_wb scope:SCOPE_SE
	s_wait_dscnt 0x0
	s_barrier_signal -1
	s_barrier_wait -1
	global_inv scope:SCOPE_SE
	ds_load_2addr_b64 v[22:25], v27 offset0:144 offset1:171
	ds_load_2addr_b64 v[6:9], v6 offset0:124 offset1:160
	;; [unrolled: 1-line block ×4, first 2 shown]
	ds_load_b64 v[49:50], v53
	ds_load_b64 v[47:48], v55
	;; [unrolled: 1-line block ×4, first 2 shown]
	ds_load_2addr_b64 v[10:13], v10 offset0:113 offset1:140
	ds_load_b64 v[39:40], v56
	s_and_saveexec_b32 s1, s0
	s_cbranch_execz .LBB0_21
; %bb.20:
	v_add_nc_u32_e32 v2, 0x800, v27
	ds_load_b64 v[0:1], v57
	ds_load_2addr_b64 v[2:5], v2 offset0:23 offset1:167
.LBB0_21:
	s_wait_alu 0xfffe
	s_or_b32 exec_lo, exec_lo, s1
	global_load_b128 v[57:60], v[41:42], off offset:1128
	v_dual_mov_b32 v42, 0 :: v_dual_lshlrev_b32 v41, 1, v38
	s_delay_alu instid0(VALU_DEP_1) | instskip(NEXT) | instid1(VALU_DEP_1)
	v_lshlrev_b64_e32 v[51:52], 3, v[41:42]
	v_add_co_u32 v51, s1, s4, v51
	s_wait_alu 0xf1ff
	s_delay_alu instid0(VALU_DEP_2) | instskip(SKIP_3) | instid1(VALU_DEP_1)
	v_add_co_ci_u32_e64 v52, s1, s5, v52, s1
	global_load_b128 v[61:64], v[51:52], off offset:1128
	s_wait_loadcnt_dscnt 0x109
	v_mul_f32_e32 v33, v58, v23
	v_fmac_f32_e32 v33, v57, v22
	v_lshlrev_b32_e32 v41, 1, v36
	s_delay_alu instid0(VALU_DEP_1) | instskip(SKIP_1) | instid1(VALU_DEP_1)
	v_lshlrev_b64_e32 v[65:66], 3, v[41:42]
	v_lshlrev_b32_e32 v41, 1, v34
	v_lshlrev_b64_e32 v[69:70], 3, v[41:42]
	s_delay_alu instid0(VALU_DEP_3) | instskip(SKIP_1) | instid1(VALU_DEP_4)
	v_add_co_u32 v51, s1, s4, v65
	s_wait_alu 0xf1ff
	v_add_co_ci_u32_e64 v52, s1, s5, v66, s1
	v_lshlrev_b32_e32 v41, 1, v32
	global_load_b128 v[65:68], v[51:52], off offset:1128
	v_add_co_u32 v51, s1, s4, v69
	s_wait_alu 0xf1ff
	v_add_co_ci_u32_e64 v52, s1, s5, v70, s1
	global_load_b128 v[69:72], v[51:52], off offset:1128
	v_lshlrev_b64_e32 v[51:52], 3, v[41:42]
	s_delay_alu instid0(VALU_DEP_1) | instskip(SKIP_1) | instid1(VALU_DEP_2)
	v_add_co_u32 v51, s1, s4, v51
	s_wait_alu 0xf1ff
	v_add_co_ci_u32_e64 v52, s1, s5, v52, s1
	global_load_b128 v[73:76], v[51:52], off offset:1128
	s_wait_dscnt 0x8
	v_mul_f32_e32 v51, v60, v9
	v_mul_f32_e32 v52, v60, v8
	global_wb scope:SCOPE_SE
	s_wait_loadcnt_dscnt 0x0
	s_barrier_signal -1
	s_barrier_wait -1
	v_dual_fmac_f32 v51, v59, v8 :: v_dual_add_f32 v8, v49, v33
	v_mul_f32_e32 v41, v58, v22
	v_fma_f32 v9, v59, v9, -v52
	v_mul_f32_e32 v58, v64, v18
	global_inv scope:SCOPE_SE
	v_add_f32_e32 v8, v8, v51
	v_fma_f32 v22, v57, v23, -v41
	v_mul_f32_e32 v57, v64, v19
	s_delay_alu instid0(VALU_DEP_2) | instskip(SKIP_2) | instid1(VALU_DEP_1)
	v_sub_f32_e32 v41, v22, v9
	v_add_f32_e32 v52, v50, v22
	v_add_f32_e32 v22, v22, v9
	v_dual_fmac_f32 v50, -0.5, v22 :: v_dual_add_f32 v23, v33, v51
	v_sub_f32_e32 v33, v33, v51
	s_delay_alu instid0(VALU_DEP_2) | instskip(NEXT) | instid1(VALU_DEP_2)
	v_fma_f32 v49, -0.5, v23, v49
	v_fmamk_f32 v23, v33, 0x3f5db3d7, v50
	v_fmac_f32_e32 v50, 0xbf5db3d7, v33
	v_dual_add_f32 v9, v52, v9 :: v_dual_mul_f32 v52, v62, v24
	s_delay_alu instid0(VALU_DEP_4) | instskip(SKIP_3) | instid1(VALU_DEP_2)
	v_fmamk_f32 v22, v41, 0xbf5db3d7, v49
	v_fmac_f32_e32 v49, 0x3f5db3d7, v41
	v_mul_f32_e32 v33, v68, v21
	v_mul_f32_e32 v41, v68, v20
	v_dual_fmac_f32 v33, v67, v20 :: v_dual_mul_f32 v20, v70, v17
	s_delay_alu instid0(VALU_DEP_1)
	v_fmac_f32_e32 v20, v69, v16
	ds_store_2addr_b64 v27, v[8:9], v[22:23] offset1:144
	ds_store_b64 v27, v[49:50] offset:2304
	v_dual_mul_f32 v8, v70, v16 :: v_dual_fmac_f32 v57, v63, v18
	v_fma_f32 v18, v63, v19, -v58
	v_mul_f32_e32 v51, v62, v25
	v_mul_f32_e32 v19, v66, v15
	s_delay_alu instid0(VALU_DEP_4) | instskip(NEXT) | instid1(VALU_DEP_3)
	v_fma_f32 v16, v69, v17, -v8
	v_dual_mul_f32 v50, v7, v74 :: v_dual_fmac_f32 v51, v61, v24
	v_fma_f32 v24, v61, v25, -v52
	s_delay_alu instid0(VALU_DEP_4) | instskip(SKIP_1) | instid1(VALU_DEP_4)
	v_fmac_f32_e32 v19, v65, v14
	v_mul_f32_e32 v25, v66, v14
	v_fmac_f32_e32 v50, v6, v73
	v_mul_f32_e32 v9, v10, v72
	s_delay_alu instid0(VALU_DEP_3) | instskip(SKIP_4) | instid1(VALU_DEP_1)
	v_fma_f32 v14, v65, v15, -v25
	v_fma_f32 v15, v67, v21, -v41
	v_sub_f32_e32 v25, v24, v18
	v_add_f32_e32 v41, v48, v24
	v_add_f32_e32 v24, v24, v18
	v_fmac_f32_e32 v48, -0.5, v24
	v_dual_mul_f32 v21, v11, v72 :: v_dual_add_f32 v24, v46, v14
	s_delay_alu instid0(VALU_DEP_1) | instskip(SKIP_4) | instid1(VALU_DEP_3)
	v_fmac_f32_e32 v21, v10, v71
	v_mul_f32_e32 v10, v6, v74
	v_add_f32_e32 v22, v47, v51
	v_add_f32_e32 v23, v51, v57
	v_sub_f32_e32 v49, v51, v57
	v_add_f32_e32 v8, v22, v57
	s_delay_alu instid0(VALU_DEP_3)
	v_fma_f32 v47, -0.5, v23, v47
	v_sub_f32_e32 v23, v14, v15
	v_add_f32_e32 v14, v14, v15
	v_add_f32_e32 v22, v19, v33
	v_fma_f32 v17, v11, v71, -v9
	v_add_f32_e32 v9, v41, v18
	v_add_f32_e32 v18, v45, v19
	v_mul_f32_e32 v51, v13, v76
	v_fma_f32 v41, v7, v73, -v10
	v_fma_f32 v45, -0.5, v22, v45
	v_add_f32_e32 v22, v44, v16
	v_add_f32_e32 v10, v18, v33
	v_sub_f32_e32 v18, v16, v17
	v_add_f32_e32 v16, v16, v17
	v_dual_sub_f32 v19, v19, v33 :: v_dual_fmac_f32 v46, -0.5, v14
	v_dual_add_f32 v14, v43, v20 :: v_dual_fmac_f32 v51, v12, v75
	s_delay_alu instid0(VALU_DEP_3) | instskip(SKIP_2) | instid1(VALU_DEP_4)
	v_fmac_f32_e32 v44, -0.5, v16
	v_dual_mul_f32 v11, v12, v76 :: v_dual_fmamk_f32 v6, v25, 0xbf5db3d7, v47
	v_dual_fmac_f32 v47, 0x3f5db3d7, v25 :: v_dual_add_f32 v16, v39, v50
	v_add_f32_e32 v14, v14, v21
	s_delay_alu instid0(VALU_DEP_3)
	v_fma_f32 v52, v13, v75, -v11
	v_add_f32_e32 v11, v24, v15
	v_add_f32_e32 v15, v20, v21
	v_dual_sub_f32 v20, v20, v21 :: v_dual_fmamk_f32 v7, v49, 0x3f5db3d7, v48
	v_fmamk_f32 v12, v23, 0xbf5db3d7, v45
	v_fmamk_f32 v13, v19, 0x3f5db3d7, v46
	s_delay_alu instid0(VALU_DEP_4) | instskip(SKIP_4) | instid1(VALU_DEP_4)
	v_fma_f32 v43, -0.5, v15, v43
	v_dual_add_f32 v15, v22, v17 :: v_dual_add_f32 v22, v41, v52
	v_fmac_f32_e32 v45, 0x3f5db3d7, v23
	v_add_f32_e32 v21, v40, v41
	v_dual_sub_f32 v23, v50, v51 :: v_dual_fmac_f32 v48, 0xbf5db3d7, v49
	v_fmac_f32_e32 v40, -0.5, v22
	v_dual_fmac_f32 v46, 0xbf5db3d7, v19 :: v_dual_sub_f32 v19, v41, v52
	ds_store_2addr_b64 v55, v[8:9], v[6:7] offset1:144
	ds_store_b64 v55, v[47:48] offset:2304
	ds_store_2addr_b64 v37, v[10:11], v[12:13] offset1:144
	v_fmamk_f32 v11, v23, 0x3f5db3d7, v40
	v_fmac_f32_e32 v40, 0xbf5db3d7, v23
	v_add_f32_e32 v17, v50, v51
	v_fmamk_f32 v6, v18, 0xbf5db3d7, v43
	v_fmamk_f32 v7, v20, 0x3f5db3d7, v44
	v_fmac_f32_e32 v43, 0x3f5db3d7, v18
	v_fmac_f32_e32 v44, 0xbf5db3d7, v20
	v_fma_f32 v39, -0.5, v17, v39
	v_dual_add_f32 v8, v16, v51 :: v_dual_add_f32 v9, v21, v52
	s_delay_alu instid0(VALU_DEP_2)
	v_fmamk_f32 v10, v19, 0xbf5db3d7, v39
	v_fmac_f32_e32 v39, 0x3f5db3d7, v19
	ds_store_b64 v37, v[45:46] offset:2304
	ds_store_2addr_b64 v35, v[14:15], v[6:7] offset1:144
	ds_store_b64 v35, v[43:44] offset:2304
	ds_store_2addr_b64 v56, v[8:9], v[10:11] offset1:144
	ds_store_b64 v56, v[39:40] offset:2304
	s_and_saveexec_b32 s1, s0
	s_cbranch_execz .LBB0_23
; %bb.22:
	v_add_nc_u32_e32 v6, -9, v26
	s_delay_alu instid0(VALU_DEP_1) | instskip(NEXT) | instid1(VALU_DEP_1)
	v_cndmask_b32_e64 v6, v6, v30, s0
	v_lshlrev_b32_e32 v41, 1, v6
	s_delay_alu instid0(VALU_DEP_1) | instskip(NEXT) | instid1(VALU_DEP_1)
	v_lshlrev_b64_e32 v[6:7], 3, v[41:42]
	v_add_co_u32 v6, s0, s4, v6
	s_wait_alu 0xf1ff
	s_delay_alu instid0(VALU_DEP_2)
	v_add_co_ci_u32_e64 v7, s0, s5, v7, s0
	global_load_b128 v[6:9], v[6:7], off offset:1128
	s_wait_loadcnt 0x0
	v_dual_mul_f32 v10, v2, v7 :: v_dual_mul_f32 v11, v4, v9
	v_mul_f32_e32 v7, v3, v7
	v_mul_f32_e32 v9, v5, v9
	s_delay_alu instid0(VALU_DEP_3) | instskip(NEXT) | instid1(VALU_DEP_4)
	v_fma_f32 v3, v3, v6, -v10
	v_fma_f32 v5, v5, v8, -v11
	s_delay_alu instid0(VALU_DEP_4) | instskip(NEXT) | instid1(VALU_DEP_3)
	v_dual_fmac_f32 v7, v2, v6 :: v_dual_add_nc_u32 v6, 0x400, v27
	v_dual_fmac_f32 v9, v4, v8 :: v_dual_add_f32 v10, v1, v3
	s_delay_alu instid0(VALU_DEP_3) | instskip(SKIP_1) | instid1(VALU_DEP_3)
	v_add_f32_e32 v2, v3, v5
	v_sub_f32_e32 v11, v3, v5
	v_sub_f32_e32 v4, v7, v9
	s_delay_alu instid0(VALU_DEP_4) | instskip(NEXT) | instid1(VALU_DEP_4)
	v_add_f32_e32 v3, v10, v5
	v_fma_f32 v1, -0.5, v2, v1
	v_dual_add_f32 v8, v7, v9 :: v_dual_add_f32 v7, v0, v7
	s_delay_alu instid0(VALU_DEP_2) | instskip(NEXT) | instid1(VALU_DEP_2)
	v_fmamk_f32 v5, v4, 0xbf5db3d7, v1
	v_fma_f32 v0, -0.5, v8, v0
	s_delay_alu instid0(VALU_DEP_3) | instskip(NEXT) | instid1(VALU_DEP_2)
	v_dual_add_f32 v2, v7, v9 :: v_dual_fmac_f32 v1, 0x3f5db3d7, v4
	v_fmamk_f32 v4, v11, 0x3f5db3d7, v0
	v_fmac_f32_e32 v0, 0xbf5db3d7, v11
	ds_store_2addr_b64 v6, v[2:3], v[0:1] offset0:7 offset1:151
	ds_store_b64 v27, v[4:5] offset:3384
.LBB0_23:
	s_wait_alu 0xfffe
	s_or_b32 exec_lo, exec_lo, s1
	global_wb scope:SCOPE_SE
	s_wait_dscnt 0x0
	s_barrier_signal -1
	s_barrier_wait -1
	global_inv scope:SCOPE_SE
	ds_load_b64 v[4:5], v53
	v_sub_nc_u32_e32 v6, v54, v31
	s_mov_b32 s1, exec_lo
                                        ; implicit-def: $vgpr0
                                        ; implicit-def: $vgpr7
                                        ; implicit-def: $vgpr8
                                        ; implicit-def: $vgpr2_vgpr3
	v_cmpx_ne_u32_e32 0, v26
	s_wait_alu 0xfffe
	s_xor_b32 s1, exec_lo, s1
	s_cbranch_execz .LBB0_25
; %bb.24:
	ds_load_b64 v[2:3], v6 offset:3456
	s_wait_dscnt 0x0
	v_dual_mov_b32 v27, 0 :: v_dual_add_f32 v8, v3, v5
	s_delay_alu instid0(VALU_DEP_1) | instskip(SKIP_2) | instid1(VALU_DEP_2)
	v_lshlrev_b64_e32 v[0:1], 3, v[26:27]
	v_dual_sub_f32 v7, v4, v2 :: v_dual_add_f32 v2, v2, v4
	v_sub_f32_e32 v3, v5, v3
	v_mul_f32_e32 v5, 0.5, v7
	s_delay_alu instid0(VALU_DEP_4)
	v_add_co_u32 v0, s0, s4, v0
	s_wait_alu 0xf1ff
	v_add_co_ci_u32_e64 v1, s0, s5, v1, s0
	v_mul_f32_e32 v3, 0.5, v3
	global_load_b64 v[0:1], v[0:1], off offset:3432
	s_wait_loadcnt 0x0
	v_dual_mul_f32 v9, 0.5, v8 :: v_dual_mul_f32 v4, v1, v5
	s_delay_alu instid0(VALU_DEP_1) | instskip(SKIP_1) | instid1(VALU_DEP_3)
	v_fma_f32 v8, v9, v1, v3
	v_fma_f32 v1, v9, v1, -v3
	v_fma_f32 v7, 0.5, v2, v4
	v_fma_f32 v2, v2, 0.5, -v4
	s_delay_alu instid0(VALU_DEP_4) | instskip(NEXT) | instid1(VALU_DEP_4)
	v_fma_f32 v8, -v0, v5, v8
	v_fma_f32 v1, -v0, v5, v1
                                        ; implicit-def: $vgpr4_vgpr5
	s_delay_alu instid0(VALU_DEP_4) | instskip(NEXT) | instid1(VALU_DEP_4)
	v_fmac_f32_e32 v7, v0, v9
	v_fma_f32 v0, -v0, v9, v2
	v_dual_mov_b32 v2, v26 :: v_dual_mov_b32 v3, v27
.LBB0_25:
	s_wait_alu 0xfffe
	s_and_not1_saveexec_b32 s0, s1
	s_cbranch_execz .LBB0_27
; %bb.26:
	ds_load_b32 v1, v54 offset:1732
	s_wait_dscnt 0x1
	v_dual_add_f32 v7, v4, v5 :: v_dual_mov_b32 v2, 0
	v_dual_sub_f32 v0, v4, v5 :: v_dual_mov_b32 v3, 0
	v_mov_b32_e32 v8, 0
	s_wait_dscnt 0x0
	v_xor_b32_e32 v4, 0x80000000, v1
	v_mov_b32_e32 v1, 0
	ds_store_b32 v54, v4 offset:1732
.LBB0_27:
	s_wait_alu 0xfffe
	s_or_b32 exec_lo, exec_lo, s0
	v_mov_b32_e32 v39, 0
	v_lshlrev_b64_e32 v[2:3], 3, v[2:3]
	v_lshl_add_u32 v21, v38, 3, v54
	s_wait_dscnt 0x0
	s_delay_alu instid0(VALU_DEP_3) | instskip(SKIP_4) | instid1(VALU_DEP_4)
	v_lshlrev_b64_e32 v[4:5], 3, v[38:39]
	v_mov_b32_e32 v37, v39
	v_mov_b32_e32 v35, v39
	;; [unrolled: 1-line block ×4, first 2 shown]
	v_lshlrev_b64_e32 v[9:10], 3, v[36:37]
	v_add_co_u32 v4, s0, s4, v4
	s_wait_alu 0xf1ff
	v_add_co_ci_u32_e64 v5, s0, s5, v5, s0
	v_lshlrev_b64_e32 v[11:12], 3, v[34:35]
	s_delay_alu instid0(VALU_DEP_4)
	v_add_co_u32 v9, s0, s4, v9
	global_load_b64 v[4:5], v[4:5], off offset:3432
	s_wait_alu 0xf1ff
	v_add_co_ci_u32_e64 v10, s0, s5, v10, s0
	v_add_co_u32 v11, s0, s4, v11
	s_wait_alu 0xf1ff
	v_add_co_ci_u32_e64 v12, s0, s5, v12, s0
	global_load_b64 v[9:10], v[9:10], off offset:3432
	v_lshlrev_b64_e32 v[13:14], 3, v[32:33]
	v_lshlrev_b64_e32 v[15:16], 3, v[30:31]
	global_load_b64 v[11:12], v[11:12], off offset:3432
	v_add_co_u32 v13, s0, s4, v13
	s_wait_alu 0xf1ff
	v_add_co_ci_u32_e64 v14, s0, s5, v14, s0
	v_add_co_u32 v15, s0, s4, v15
	s_wait_alu 0xf1ff
	v_add_co_ci_u32_e64 v16, s0, s5, v16, s0
	global_load_b64 v[13:14], v[13:14], off offset:3432
	s_add_nc_u64 s[0:1], s[4:5], 0xd68
	global_load_b64 v[15:16], v[15:16], off offset:3432
	s_wait_alu 0xfffe
	v_add_co_u32 v17, s0, s0, v2
	s_wait_alu 0xf1ff
	v_add_co_ci_u32_e64 v18, s0, s1, v3, s0
	global_load_b64 v[19:20], v[17:18], off offset:1296
	ds_store_2addr_b32 v53, v7, v8 offset1:1
	ds_store_b64 v6, v[0:1] offset:3456
	global_load_b64 v[0:1], v[17:18], off offset:1512
	ds_load_b64 v[7:8], v21
	ds_load_b64 v[17:18], v6 offset:3240
	s_wait_dscnt 0x0
	v_dual_sub_f32 v22, v7, v17 :: v_dual_add_f32 v23, v8, v18
	v_sub_f32_e32 v8, v8, v18
	s_delay_alu instid0(VALU_DEP_2) | instskip(NEXT) | instid1(VALU_DEP_3)
	v_mul_f32_e32 v18, 0.5, v22
	v_mul_f32_e32 v22, 0.5, v23
	s_delay_alu instid0(VALU_DEP_3) | instskip(SKIP_1) | instid1(VALU_DEP_3)
	v_dual_mul_f32 v8, 0.5, v8 :: v_dual_add_f32 v7, v7, v17
	s_wait_loadcnt 0x6
	v_mul_f32_e32 v17, v5, v18
	s_delay_alu instid0(VALU_DEP_2) | instskip(SKIP_1) | instid1(VALU_DEP_3)
	v_fma_f32 v23, v22, v5, v8
	v_fma_f32 v5, v22, v5, -v8
	v_fma_f32 v8, 0.5, v7, v17
	s_delay_alu instid0(VALU_DEP_2) | instskip(NEXT) | instid1(VALU_DEP_2)
	v_fma_f32 v5, -v4, v18, v5
	v_fmac_f32_e32 v8, v4, v22
	v_fma_f32 v7, v7, 0.5, -v17
	v_fma_f32 v17, -v4, v18, v23
	v_lshl_add_u32 v18, v36, 3, v54
	s_delay_alu instid0(VALU_DEP_3)
	v_fma_f32 v4, -v4, v22, v7
	ds_store_2addr_b32 v21, v8, v17 offset1:1
	ds_store_b64 v6, v[4:5] offset:3240
	ds_load_b64 v[4:5], v18
	ds_load_b64 v[7:8], v6 offset:3024
	s_wait_dscnt 0x0
	v_sub_f32_e32 v17, v4, v7
	v_add_f32_e32 v21, v5, v8
	v_dual_sub_f32 v5, v5, v8 :: v_dual_add_f32 v4, v4, v7
	s_delay_alu instid0(VALU_DEP_3) | instskip(NEXT) | instid1(VALU_DEP_3)
	v_mul_f32_e32 v8, 0.5, v17
	v_mul_f32_e32 v17, 0.5, v21
	s_delay_alu instid0(VALU_DEP_3) | instskip(SKIP_1) | instid1(VALU_DEP_3)
	v_mul_f32_e32 v5, 0.5, v5
	s_wait_loadcnt 0x5
	v_mul_f32_e32 v7, v10, v8
	s_delay_alu instid0(VALU_DEP_2) | instskip(SKIP_1) | instid1(VALU_DEP_3)
	v_fma_f32 v21, v17, v10, v5
	v_fma_f32 v5, v17, v10, -v5
	v_fma_f32 v10, 0.5, v4, v7
	s_delay_alu instid0(VALU_DEP_2) | instskip(NEXT) | instid1(VALU_DEP_2)
	v_fma_f32 v5, -v9, v8, v5
	v_fmac_f32_e32 v10, v9, v17
	v_fma_f32 v4, v4, 0.5, -v7
	v_fma_f32 v7, -v9, v8, v21
	s_delay_alu instid0(VALU_DEP_2)
	v_fma_f32 v4, -v9, v17, v4
	v_lshl_add_u32 v9, v34, 3, v54
	ds_store_2addr_b32 v18, v10, v7 offset1:1
	ds_store_b64 v6, v[4:5] offset:3024
	ds_load_b64 v[4:5], v9
	ds_load_b64 v[7:8], v6 offset:2808
	s_wait_dscnt 0x0
	v_dual_sub_f32 v10, v4, v7 :: v_dual_add_f32 v17, v5, v8
	v_dual_sub_f32 v5, v5, v8 :: v_dual_add_f32 v4, v4, v7
	s_delay_alu instid0(VALU_DEP_2) | instskip(NEXT) | instid1(VALU_DEP_3)
	v_mul_f32_e32 v8, 0.5, v10
	v_mul_f32_e32 v10, 0.5, v17
	s_delay_alu instid0(VALU_DEP_3) | instskip(SKIP_1) | instid1(VALU_DEP_3)
	v_mul_f32_e32 v5, 0.5, v5
	s_wait_loadcnt 0x4
	v_mul_f32_e32 v7, v12, v8
	s_delay_alu instid0(VALU_DEP_2) | instskip(SKIP_1) | instid1(VALU_DEP_3)
	v_fma_f32 v17, v10, v12, v5
	v_fma_f32 v5, v10, v12, -v5
	v_fma_f32 v12, 0.5, v4, v7
	v_fma_f32 v4, v4, 0.5, -v7
	s_delay_alu instid0(VALU_DEP_4) | instskip(NEXT) | instid1(VALU_DEP_4)
	v_fma_f32 v7, -v11, v8, v17
	v_fma_f32 v5, -v11, v8, v5
	s_delay_alu instid0(VALU_DEP_4) | instskip(NEXT) | instid1(VALU_DEP_4)
	v_fmac_f32_e32 v12, v11, v10
	v_fma_f32 v4, -v11, v10, v4
	v_lshl_add_u32 v10, v32, 3, v54
	ds_store_2addr_b32 v9, v12, v7 offset1:1
	ds_store_b64 v6, v[4:5] offset:2808
	ds_load_b64 v[4:5], v10
	ds_load_b64 v[7:8], v6 offset:2592
	s_wait_dscnt 0x0
	v_sub_f32_e32 v9, v4, v7
	v_add_f32_e32 v11, v5, v8
	v_dual_sub_f32 v5, v5, v8 :: v_dual_add_f32 v4, v4, v7
	s_delay_alu instid0(VALU_DEP_2) | instskip(NEXT) | instid1(VALU_DEP_2)
	v_dual_mul_f32 v8, 0.5, v9 :: v_dual_mul_f32 v9, 0.5, v11
	v_mul_f32_e32 v5, 0.5, v5
	s_wait_loadcnt 0x3
	s_delay_alu instid0(VALU_DEP_2) | instskip(NEXT) | instid1(VALU_DEP_2)
	v_mul_f32_e32 v7, v14, v8
	v_fma_f32 v11, v9, v14, v5
	v_fma_f32 v5, v9, v14, -v5
	s_delay_alu instid0(VALU_DEP_3) | instskip(SKIP_1) | instid1(VALU_DEP_4)
	v_fma_f32 v12, 0.5, v4, v7
	v_fma_f32 v4, v4, 0.5, -v7
	v_fma_f32 v7, -v13, v8, v11
	s_delay_alu instid0(VALU_DEP_4) | instskip(NEXT) | instid1(VALU_DEP_4)
	v_fma_f32 v5, -v13, v8, v5
	v_fmac_f32_e32 v12, v13, v9
	s_delay_alu instid0(VALU_DEP_4)
	v_fma_f32 v4, -v13, v9, v4
	v_lshl_add_u32 v9, v30, 3, v54
	ds_store_2addr_b32 v10, v12, v7 offset1:1
	ds_store_b64 v6, v[4:5] offset:2592
	ds_load_b64 v[4:5], v9
	ds_load_b64 v[7:8], v6 offset:2376
	s_wait_dscnt 0x0
	v_dual_sub_f32 v10, v4, v7 :: v_dual_add_f32 v11, v5, v8
	v_dual_sub_f32 v5, v5, v8 :: v_dual_add_f32 v4, v4, v7
	s_delay_alu instid0(VALU_DEP_2) | instskip(NEXT) | instid1(VALU_DEP_2)
	v_mul_f32_e32 v8, 0.5, v10
	v_dual_mul_f32 v10, 0.5, v11 :: v_dual_mul_f32 v5, 0.5, v5
	s_wait_loadcnt 0x2
	s_delay_alu instid0(VALU_DEP_2) | instskip(NEXT) | instid1(VALU_DEP_2)
	v_mul_f32_e32 v7, v16, v8
	v_fma_f32 v11, v10, v16, v5
	v_fma_f32 v5, v10, v16, -v5
	s_delay_alu instid0(VALU_DEP_3) | instskip(SKIP_1) | instid1(VALU_DEP_4)
	v_fma_f32 v12, 0.5, v4, v7
	v_fma_f32 v4, v4, 0.5, -v7
	v_fma_f32 v7, -v15, v8, v11
	s_delay_alu instid0(VALU_DEP_4) | instskip(NEXT) | instid1(VALU_DEP_4)
	v_fma_f32 v5, -v15, v8, v5
	v_fmac_f32_e32 v12, v15, v10
	s_delay_alu instid0(VALU_DEP_4)
	v_fma_f32 v4, -v15, v10, v4
	ds_store_2addr_b32 v9, v12, v7 offset1:1
	ds_store_b64 v6, v[4:5] offset:2376
	ds_load_b64 v[4:5], v53 offset:1296
	ds_load_b64 v[7:8], v6 offset:2160
	s_wait_dscnt 0x0
	v_dual_sub_f32 v9, v4, v7 :: v_dual_add_nc_u32 v12, 0x400, v53
	v_add_f32_e32 v10, v5, v8
	v_dual_sub_f32 v5, v5, v8 :: v_dual_add_f32 v4, v4, v7
	s_delay_alu instid0(VALU_DEP_2) | instskip(NEXT) | instid1(VALU_DEP_2)
	v_dual_mul_f32 v8, 0.5, v9 :: v_dual_mul_f32 v9, 0.5, v10
	v_mul_f32_e32 v5, 0.5, v5
	s_wait_loadcnt 0x1
	s_delay_alu instid0(VALU_DEP_2) | instskip(NEXT) | instid1(VALU_DEP_2)
	v_mul_f32_e32 v7, v20, v8
	v_fma_f32 v10, v9, v20, v5
	v_fma_f32 v5, v9, v20, -v5
	s_delay_alu instid0(VALU_DEP_3) | instskip(SKIP_1) | instid1(VALU_DEP_4)
	v_fma_f32 v11, 0.5, v4, v7
	v_fma_f32 v4, v4, 0.5, -v7
	v_fma_f32 v7, -v19, v8, v10
	s_delay_alu instid0(VALU_DEP_4) | instskip(NEXT) | instid1(VALU_DEP_4)
	v_fma_f32 v5, -v19, v8, v5
	v_fmac_f32_e32 v11, v19, v9
	s_delay_alu instid0(VALU_DEP_4)
	v_fma_f32 v4, -v19, v9, v4
	ds_store_2addr_b32 v12, v11, v7 offset0:68 offset1:69
	ds_store_b64 v6, v[4:5] offset:2160
	ds_load_b64 v[4:5], v53 offset:1512
	ds_load_b64 v[7:8], v6 offset:1944
	s_wait_dscnt 0x0
	v_dual_add_f32 v10, v5, v8 :: v_dual_sub_f32 v9, v4, v7
	v_dual_sub_f32 v5, v5, v8 :: v_dual_add_f32 v4, v4, v7
	s_delay_alu instid0(VALU_DEP_2) | instskip(NEXT) | instid1(VALU_DEP_2)
	v_dual_mul_f32 v8, 0.5, v9 :: v_dual_mul_f32 v9, 0.5, v10
	v_mul_f32_e32 v5, 0.5, v5
	s_wait_loadcnt 0x0
	s_delay_alu instid0(VALU_DEP_2) | instskip(NEXT) | instid1(VALU_DEP_2)
	v_mul_f32_e32 v7, v1, v8
	v_fma_f32 v10, v9, v1, v5
	v_fma_f32 v1, v9, v1, -v5
	s_delay_alu instid0(VALU_DEP_3) | instskip(SKIP_1) | instid1(VALU_DEP_4)
	v_fma_f32 v5, 0.5, v4, v7
	v_fma_f32 v4, v4, 0.5, -v7
	v_fma_f32 v7, -v0, v8, v10
	s_delay_alu instid0(VALU_DEP_4) | instskip(NEXT) | instid1(VALU_DEP_4)
	v_fma_f32 v1, -v0, v8, v1
	v_fmac_f32_e32 v5, v0, v9
	s_delay_alu instid0(VALU_DEP_4)
	v_fma_f32 v0, -v0, v9, v4
	ds_store_2addr_b32 v12, v5, v7 offset0:122 offset1:123
	ds_store_b64 v6, v[0:1] offset:1944
	global_wb scope:SCOPE_SE
	s_wait_dscnt 0x0
	s_barrier_signal -1
	s_barrier_wait -1
	global_inv scope:SCOPE_SE
	s_and_saveexec_b32 s0, vcc_lo
	s_cbranch_execz .LBB0_30
; %bb.28:
	v_add_nc_u32_e32 v24, 0x800, v53
	v_add_co_u32 v0, vcc_lo, s8, v28
	ds_load_2addr_b64 v[4:7], v53 offset1:27
	ds_load_2addr_b64 v[8:11], v53 offset0:54 offset1:81
	ds_load_2addr_b64 v[12:15], v53 offset0:108 offset1:135
	;; [unrolled: 1-line block ×3, first 2 shown]
	s_wait_alu 0xfffd
	v_add_co_ci_u32_e32 v1, vcc_lo, s9, v29, vcc_lo
	ds_load_2addr_b64 v[20:23], v53 offset0:216 offset1:243
	ds_load_2addr_b64 v[27:30], v24 offset0:14 offset1:41
	;; [unrolled: 1-line block ×4, first 2 shown]
	v_add_co_u32 v2, vcc_lo, v0, v2
	s_wait_alu 0xfffd
	v_add_co_ci_u32_e32 v3, vcc_lo, v1, v3, vcc_lo
	v_cmp_eq_u32_e32 vcc_lo, 26, v26
	s_wait_dscnt 0x7
	s_clause 0x1
	global_store_b64 v[2:3], v[4:5], off
	global_store_b64 v[2:3], v[6:7], off offset:216
	s_wait_dscnt 0x6
	s_clause 0x1
	global_store_b64 v[2:3], v[8:9], off offset:432
	global_store_b64 v[2:3], v[10:11], off offset:648
	s_wait_dscnt 0x5
	s_clause 0x1
	global_store_b64 v[2:3], v[12:13], off offset:864
	;; [unrolled: 4-line block ×7, first 2 shown]
	global_store_b64 v[2:3], v[37:38], off offset:3240
	s_and_b32 exec_lo, exec_lo, vcc_lo
	s_cbranch_execz .LBB0_30
; %bb.29:
	ds_load_b64 v[2:3], v53 offset:3248
	s_wait_dscnt 0x0
	global_store_b64 v[0:1], v[2:3], off offset:3456
.LBB0_30:
	s_nop 0
	s_sendmsg sendmsg(MSG_DEALLOC_VGPRS)
	s_endpgm
	.section	.rodata,"a",@progbits
	.p2align	6, 0x0
	.amdhsa_kernel fft_rtc_back_len432_factors_3_16_3_3_wgs_54_tpt_27_halfLds_sp_ip_CI_unitstride_sbrr_R2C_dirReg
		.amdhsa_group_segment_fixed_size 0
		.amdhsa_private_segment_fixed_size 0
		.amdhsa_kernarg_size 88
		.amdhsa_user_sgpr_count 2
		.amdhsa_user_sgpr_dispatch_ptr 0
		.amdhsa_user_sgpr_queue_ptr 0
		.amdhsa_user_sgpr_kernarg_segment_ptr 1
		.amdhsa_user_sgpr_dispatch_id 0
		.amdhsa_user_sgpr_private_segment_size 0
		.amdhsa_wavefront_size32 1
		.amdhsa_uses_dynamic_stack 0
		.amdhsa_enable_private_segment 0
		.amdhsa_system_sgpr_workgroup_id_x 1
		.amdhsa_system_sgpr_workgroup_id_y 0
		.amdhsa_system_sgpr_workgroup_id_z 0
		.amdhsa_system_sgpr_workgroup_info 0
		.amdhsa_system_vgpr_workitem_id 0
		.amdhsa_next_free_vgpr 91
		.amdhsa_next_free_sgpr 32
		.amdhsa_reserve_vcc 1
		.amdhsa_float_round_mode_32 0
		.amdhsa_float_round_mode_16_64 0
		.amdhsa_float_denorm_mode_32 3
		.amdhsa_float_denorm_mode_16_64 3
		.amdhsa_fp16_overflow 0
		.amdhsa_workgroup_processor_mode 1
		.amdhsa_memory_ordered 1
		.amdhsa_forward_progress 0
		.amdhsa_round_robin_scheduling 0
		.amdhsa_exception_fp_ieee_invalid_op 0
		.amdhsa_exception_fp_denorm_src 0
		.amdhsa_exception_fp_ieee_div_zero 0
		.amdhsa_exception_fp_ieee_overflow 0
		.amdhsa_exception_fp_ieee_underflow 0
		.amdhsa_exception_fp_ieee_inexact 0
		.amdhsa_exception_int_div_zero 0
	.end_amdhsa_kernel
	.text
.Lfunc_end0:
	.size	fft_rtc_back_len432_factors_3_16_3_3_wgs_54_tpt_27_halfLds_sp_ip_CI_unitstride_sbrr_R2C_dirReg, .Lfunc_end0-fft_rtc_back_len432_factors_3_16_3_3_wgs_54_tpt_27_halfLds_sp_ip_CI_unitstride_sbrr_R2C_dirReg
                                        ; -- End function
	.section	.AMDGPU.csdata,"",@progbits
; Kernel info:
; codeLenInByte = 9632
; NumSgprs: 34
; NumVgprs: 91
; ScratchSize: 0
; MemoryBound: 0
; FloatMode: 240
; IeeeMode: 1
; LDSByteSize: 0 bytes/workgroup (compile time only)
; SGPRBlocks: 4
; VGPRBlocks: 11
; NumSGPRsForWavesPerEU: 34
; NumVGPRsForWavesPerEU: 91
; Occupancy: 16
; WaveLimiterHint : 1
; COMPUTE_PGM_RSRC2:SCRATCH_EN: 0
; COMPUTE_PGM_RSRC2:USER_SGPR: 2
; COMPUTE_PGM_RSRC2:TRAP_HANDLER: 0
; COMPUTE_PGM_RSRC2:TGID_X_EN: 1
; COMPUTE_PGM_RSRC2:TGID_Y_EN: 0
; COMPUTE_PGM_RSRC2:TGID_Z_EN: 0
; COMPUTE_PGM_RSRC2:TIDIG_COMP_CNT: 0
	.text
	.p2alignl 7, 3214868480
	.fill 96, 4, 3214868480
	.type	__hip_cuid_78602c761959419,@object ; @__hip_cuid_78602c761959419
	.section	.bss,"aw",@nobits
	.globl	__hip_cuid_78602c761959419
__hip_cuid_78602c761959419:
	.byte	0                               ; 0x0
	.size	__hip_cuid_78602c761959419, 1

	.ident	"AMD clang version 19.0.0git (https://github.com/RadeonOpenCompute/llvm-project roc-6.4.0 25133 c7fe45cf4b819c5991fe208aaa96edf142730f1d)"
	.section	".note.GNU-stack","",@progbits
	.addrsig
	.addrsig_sym __hip_cuid_78602c761959419
	.amdgpu_metadata
---
amdhsa.kernels:
  - .args:
      - .actual_access:  read_only
        .address_space:  global
        .offset:         0
        .size:           8
        .value_kind:     global_buffer
      - .offset:         8
        .size:           8
        .value_kind:     by_value
      - .actual_access:  read_only
        .address_space:  global
        .offset:         16
        .size:           8
        .value_kind:     global_buffer
      - .actual_access:  read_only
        .address_space:  global
        .offset:         24
        .size:           8
        .value_kind:     global_buffer
      - .offset:         32
        .size:           8
        .value_kind:     by_value
      - .actual_access:  read_only
        .address_space:  global
        .offset:         40
        .size:           8
        .value_kind:     global_buffer
      - .actual_access:  read_only
        .address_space:  global
        .offset:         48
        .size:           8
        .value_kind:     global_buffer
      - .offset:         56
        .size:           4
        .value_kind:     by_value
      - .actual_access:  read_only
        .address_space:  global
        .offset:         64
        .size:           8
        .value_kind:     global_buffer
      - .actual_access:  read_only
        .address_space:  global
        .offset:         72
        .size:           8
        .value_kind:     global_buffer
      - .address_space:  global
        .offset:         80
        .size:           8
        .value_kind:     global_buffer
    .group_segment_fixed_size: 0
    .kernarg_segment_align: 8
    .kernarg_segment_size: 88
    .language:       OpenCL C
    .language_version:
      - 2
      - 0
    .max_flat_workgroup_size: 54
    .name:           fft_rtc_back_len432_factors_3_16_3_3_wgs_54_tpt_27_halfLds_sp_ip_CI_unitstride_sbrr_R2C_dirReg
    .private_segment_fixed_size: 0
    .sgpr_count:     34
    .sgpr_spill_count: 0
    .symbol:         fft_rtc_back_len432_factors_3_16_3_3_wgs_54_tpt_27_halfLds_sp_ip_CI_unitstride_sbrr_R2C_dirReg.kd
    .uniform_work_group_size: 1
    .uses_dynamic_stack: false
    .vgpr_count:     91
    .vgpr_spill_count: 0
    .wavefront_size: 32
    .workgroup_processor_mode: 1
amdhsa.target:   amdgcn-amd-amdhsa--gfx1201
amdhsa.version:
  - 1
  - 2
...

	.end_amdgpu_metadata
